;; amdgpu-corpus repo=ROCm/rocFFT kind=compiled arch=gfx1030 opt=O3
	.text
	.amdgcn_target "amdgcn-amd-amdhsa--gfx1030"
	.amdhsa_code_object_version 6
	.protected	bluestein_single_back_len1617_dim1_dp_op_CI_CI ; -- Begin function bluestein_single_back_len1617_dim1_dp_op_CI_CI
	.globl	bluestein_single_back_len1617_dim1_dp_op_CI_CI
	.p2align	8
	.type	bluestein_single_back_len1617_dim1_dp_op_CI_CI,@function
bluestein_single_back_len1617_dim1_dp_op_CI_CI: ; @bluestein_single_back_len1617_dim1_dp_op_CI_CI
; %bb.0:
	s_load_dwordx4 s[8:11], s[4:5], 0x28
	v_mul_u32_u24_e32 v1, 0x11c, v0
	s_mov_b64 s[38:39], s[2:3]
	s_mov_b64 s[36:37], s[0:1]
	v_mov_b32_e32 v11, 0
	s_add_u32 s36, s36, s7
	v_lshrrev_b32_e32 v1, 16, v1
	s_addc_u32 s37, s37, 0
	s_mov_b32 s0, exec_lo
	v_add_nc_u32_e32 v10, s6, v1
	s_waitcnt lgkmcnt(0)
	v_cmpx_gt_u64_e64 s[8:9], v[10:11]
	s_cbranch_execz .LBB0_23
; %bb.1:
	s_clause 0x1
	s_load_dwordx4 s[0:3], s[4:5], 0x18
	s_load_dwordx2 s[6:7], s[4:5], 0x0
	v_mul_lo_u16 v1, 0xe7, v1
	v_mov_b32_e32 v11, v10
	v_sub_nc_u16 v50, v0, v1
	v_and_b32_e32 v202, 0xffff, v50
	v_lshlrev_b32_e32 v255, 4, v202
	s_waitcnt lgkmcnt(0)
	s_load_dwordx4 s[12:15], s[0:1], 0x0
	v_add_co_u32 v156, s0, s6, v255
	v_add_co_ci_u32_e64 v197, null, s7, 0, s0
	global_load_dwordx4 v[51:54], v255, s[6:7]
	v_add_co_u32 v0, vcc_lo, 0x2000, v156
	v_add_co_ci_u32_e32 v1, vcc_lo, 0, v197, vcc_lo
	v_add_co_u32 v4, vcc_lo, 0x4000, v156
	v_add_co_ci_u32_e32 v5, vcc_lo, 0, v197, vcc_lo
	buffer_store_dword v11, off, s[36:39], 0 ; 4-byte Folded Spill
	buffer_store_dword v12, off, s[36:39], 0 offset:4 ; 4-byte Folded Spill
	v_add_co_u32 v8, vcc_lo, 0x800, v156
	global_load_dwordx4 v[63:66], v[0:1], off offset:432
	v_add_co_ci_u32_e32 v9, vcc_lo, 0, v197, vcc_lo
	s_waitcnt lgkmcnt(0)
	v_mad_u64_u32 v[2:3], null, s14, v10, 0
	v_mad_u64_u32 v[6:7], null, s12, v202, 0
	v_add_co_u32 v22, vcc_lo, 0x3000, v156
	v_add_co_ci_u32_e32 v23, vcc_lo, 0, v197, vcc_lo
	v_mad_u64_u32 v[10:11], null, s15, v10, v[3:4]
	v_mad_u64_u32 v[0:1], null, s13, v202, v[7:8]
	v_add_co_u32 v24, vcc_lo, 0x5000, v156
	v_add_co_ci_u32_e32 v25, vcc_lo, 0, v197, vcc_lo
	v_mov_b32_e32 v3, v10
	s_mul_i32 s1, s13, 0x21b
	v_mov_b32_e32 v7, v0
	s_mul_hi_u32 s7, s12, 0x21b
	s_mul_i32 s0, s12, 0x21b
	v_lshlrev_b64 v[0:1], 4, v[2:3]
	s_mul_hi_u32 s9, s12, 0xfffffcb1
	v_lshlrev_b64 v[2:3], 4, v[6:7]
	s_add_i32 s1, s7, s1
	s_mul_i32 s8, s13, 0xfffffcb1
	s_mul_i32 s6, s12, 0xfffffcb1
	v_add_co_u32 v0, vcc_lo, s10, v0
	v_add_co_ci_u32_e32 v1, vcc_lo, s11, v1, vcc_lo
	s_sub_i32 s7, s9, s12
	v_add_co_u32 v0, vcc_lo, v0, v2
	v_add_co_ci_u32_e32 v1, vcc_lo, v1, v3, vcc_lo
	s_lshl_b64 s[12:13], s[0:1], 4
	s_add_i32 s7, s7, s8
	v_add_co_u32 v6, vcc_lo, v0, s12
	v_add_co_ci_u32_e32 v7, vcc_lo, s13, v1, vcc_lo
	s_lshl_b64 s[0:1], s[6:7], 4
	v_add_co_u32 v10, vcc_lo, v6, s12
	v_add_co_ci_u32_e32 v11, vcc_lo, s13, v7, vcc_lo
	s_clause 0x1
	global_load_dwordx4 v[59:62], v[4:5], off offset:864
	global_load_dwordx4 v[55:58], v[8:9], off offset:1648
	v_add_co_u32 v14, vcc_lo, v10, s0
	v_add_co_ci_u32_e32 v15, vcc_lo, s1, v11, vcc_lo
	s_clause 0x1
	global_load_dwordx4 v[2:5], v[0:1], off
	global_load_dwordx4 v[6:9], v[6:7], off
	v_add_co_u32 v18, vcc_lo, v14, s12
	v_add_co_ci_u32_e32 v19, vcc_lo, s13, v15, vcc_lo
	global_load_dwordx4 v[10:13], v[10:11], off
	v_add_co_u32 v0, vcc_lo, v18, s12
	v_add_co_ci_u32_e32 v1, vcc_lo, s13, v19, vcc_lo
	s_clause 0x1
	global_load_dwordx4 v[14:17], v[14:15], off
	global_load_dwordx4 v[18:21], v[18:19], off
	s_clause 0x1
	global_load_dwordx4 v[67:70], v[22:23], off offset:32
	global_load_dwordx4 v[71:74], v[24:25], off offset:464
	global_load_dwordx4 v[22:25], v[0:1], off
	v_cmp_gt_u16_e32 vcc_lo, 0x4d, v50
	s_waitcnt vmcnt(7)
	v_mul_f64 v[26:27], v[4:5], v[53:54]
	s_waitcnt vmcnt(6)
	v_mul_f64 v[30:31], v[8:9], v[65:66]
	v_mul_f64 v[28:29], v[2:3], v[53:54]
	;; [unrolled: 1-line block ×3, first 2 shown]
	s_waitcnt vmcnt(5)
	v_mul_f64 v[34:35], v[12:13], v[61:62]
	s_waitcnt vmcnt(4)
	v_mul_f64 v[38:39], v[16:17], v[57:58]
	v_mul_f64 v[36:37], v[10:11], v[61:62]
	s_waitcnt vmcnt(2)
	v_mul_f64 v[42:43], v[20:21], v[69:70]
	;; [unrolled: 3-line block ×3, first 2 shown]
	v_mul_f64 v[44:45], v[18:19], v[69:70]
	v_mul_f64 v[48:49], v[22:23], v[73:74]
	v_fma_f64 v[2:3], v[2:3], v[51:52], v[26:27]
	buffer_store_dword v51, off, s[36:39], 0 offset:8 ; 4-byte Folded Spill
	buffer_store_dword v52, off, s[36:39], 0 offset:12 ; 4-byte Folded Spill
	buffer_store_dword v53, off, s[36:39], 0 offset:16 ; 4-byte Folded Spill
	buffer_store_dword v54, off, s[36:39], 0 offset:20 ; 4-byte Folded Spill
	v_fma_f64 v[6:7], v[6:7], v[63:64], v[30:31]
	buffer_store_dword v63, off, s[36:39], 0 offset:56 ; 4-byte Folded Spill
	buffer_store_dword v64, off, s[36:39], 0 offset:60 ; 4-byte Folded Spill
	buffer_store_dword v65, off, s[36:39], 0 offset:64 ; 4-byte Folded Spill
	buffer_store_dword v66, off, s[36:39], 0 offset:68 ; 4-byte Folded Spill
	;; [unrolled: 5-line block ×6, first 2 shown]
	s_load_dwordx2 s[6:7], s[4:5], 0x38
	s_load_dwordx4 s[8:11], s[2:3], 0x0
	v_fma_f64 v[4:5], v[4:5], v[51:52], -v[28:29]
	v_fma_f64 v[8:9], v[8:9], v[63:64], -v[32:33]
	ds_write_b128 v255, v[2:5]
	ds_write_b128 v255, v[6:9] offset:8624
	v_fma_f64 v[12:13], v[12:13], v[59:60], -v[36:37]
	v_fma_f64 v[16:17], v[16:17], v[55:56], -v[40:41]
	;; [unrolled: 1-line block ×4, first 2 shown]
	ds_write_b128 v255, v[10:13] offset:17248
	ds_write_b128 v255, v[14:17] offset:3696
	;; [unrolled: 1-line block ×4, first 2 shown]
	s_and_saveexec_b32 s2, vcc_lo
	s_cbranch_execz .LBB0_3
; %bb.2:
	v_add_co_u32 v4, s0, v0, s0
	v_add_co_ci_u32_e64 v5, s0, s1, v1, s0
	v_add_co_u32 v6, s0, 0x1800, v156
	v_add_co_ci_u32_e64 v7, s0, 0, v197, s0
	;; [unrolled: 2-line block ×5, first 2 shown]
	v_add_co_u32 v20, s0, v8, s12
	global_load_dwordx4 v[0:3], v[4:5], off
	v_add_co_ci_u32_e64 v21, s0, s13, v9, s0
	global_load_dwordx4 v[4:7], v[6:7], off offset:1248
	global_load_dwordx4 v[8:11], v[8:9], off
	s_clause 0x1
	global_load_dwordx4 v[12:15], v[12:13], off offset:1680
	global_load_dwordx4 v[16:19], v[16:17], off offset:64
	global_load_dwordx4 v[20:23], v[20:21], off
	s_waitcnt vmcnt(4)
	v_mul_f64 v[24:25], v[2:3], v[6:7]
	v_mul_f64 v[6:7], v[0:1], v[6:7]
	s_waitcnt vmcnt(2)
	v_mul_f64 v[26:27], v[10:11], v[14:15]
	v_mul_f64 v[14:15], v[8:9], v[14:15]
	;; [unrolled: 3-line block ×3, first 2 shown]
	v_fma_f64 v[0:1], v[0:1], v[4:5], v[24:25]
	v_fma_f64 v[2:3], v[2:3], v[4:5], -v[6:7]
	v_fma_f64 v[4:5], v[8:9], v[12:13], v[26:27]
	v_fma_f64 v[6:7], v[10:11], v[12:13], -v[14:15]
	;; [unrolled: 2-line block ×3, first 2 shown]
	ds_write_b128 v255, v[0:3] offset:7392
	ds_write_b128 v255, v[4:7] offset:16016
	;; [unrolled: 1-line block ×3, first 2 shown]
.LBB0_3:
	s_or_b32 exec_lo, exec_lo, s2
	s_waitcnt lgkmcnt(0)
	s_waitcnt_vscnt null, 0x0
	s_barrier
	buffer_gl0_inv
	ds_read_b128 v[48:51], v255
	ds_read_b128 v[44:47], v255 offset:3696
	ds_read_b128 v[56:59], v255 offset:8624
	ds_read_b128 v[52:55], v255 offset:12320
	ds_read_b128 v[40:43], v255 offset:17248
	ds_read_b128 v[36:39], v255 offset:20944
	s_load_dwordx2 s[2:3], s[4:5], 0x8
                                        ; implicit-def: $vgpr24_vgpr25
                                        ; implicit-def: $vgpr28_vgpr29
                                        ; implicit-def: $vgpr32_vgpr33
	s_and_saveexec_b32 s0, vcc_lo
	s_cbranch_execz .LBB0_5
; %bb.4:
	ds_read_b128 v[24:27], v255 offset:7392
	ds_read_b128 v[28:31], v255 offset:16016
	;; [unrolled: 1-line block ×3, first 2 shown]
.LBB0_5:
	s_or_b32 exec_lo, exec_lo, s0
	s_waitcnt lgkmcnt(0)
	v_add_f64 v[0:1], v[56:57], v[40:41]
	v_add_f64 v[2:3], v[58:59], v[42:43]
	;; [unrolled: 1-line block ×7, first 2 shown]
	v_add_f64 v[14:15], v[58:59], -v[42:43]
	v_add_f64 v[16:17], v[50:51], v[58:59]
	v_add_f64 v[18:19], v[44:45], v[52:53]
	;; [unrolled: 1-line block ×3, first 2 shown]
	v_add_f64 v[54:55], v[54:55], -v[38:39]
	v_add_f64 v[52:53], v[52:53], -v[36:37]
	;; [unrolled: 1-line block ×3, first 2 shown]
	s_mov_b32 s0, 0xe8584caa
	s_mov_b32 s1, 0x3febb67a
	;; [unrolled: 1-line block ×4, first 2 shown]
	s_barrier
	buffer_gl0_inv
	v_fma_f64 v[22:23], v[0:1], -0.5, v[48:49]
	v_add_f64 v[48:49], v[56:57], -v[40:41]
	v_fma_f64 v[50:51], v[2:3], -0.5, v[50:51]
	v_fma_f64 v[44:45], v[4:5], -0.5, v[44:45]
	v_fma_f64 v[46:47], v[6:7], -0.5, v[46:47]
	v_add_f64 v[56:57], v[30:31], -v[34:35]
	v_fma_f64 v[58:59], v[8:9], -0.5, v[24:25]
	v_fma_f64 v[62:63], v[10:11], -0.5, v[26:27]
	v_add_f64 v[0:1], v[12:13], v[40:41]
	v_add_f64 v[2:3], v[16:17], v[42:43]
	;; [unrolled: 1-line block ×4, first 2 shown]
	v_add_nc_u32_e32 v36, 0xe7, v202
	v_mul_lo_u16 v37, v202, 3
	v_mov_b32_e32 v38, 4
	v_add_co_u32 v39, null, 0x1ce, v202
	v_mul_u32_u24_e32 v36, 3, v36
	v_lshlrev_b32_sdwa v38, v38, v37 dst_sel:DWORD dst_unused:UNUSED_PAD src0_sel:DWORD src1_sel:WORD_0
	v_mul_u32_u24_e32 v37, 3, v39
	v_lshlrev_b32_e32 v36, 4, v36
	v_fma_f64 v[8:9], v[14:15], s[0:1], v[22:23]
	v_fma_f64 v[12:13], v[14:15], s[4:5], v[22:23]
	;; [unrolled: 1-line block ×12, first 2 shown]
	buffer_store_dword v37, off, s[36:39], 0 offset:108 ; 4-byte Folded Spill
	ds_write_b128 v38, v[0:3]
	ds_write_b128 v38, v[8:11] offset:16
	buffer_store_dword v38, off, s[36:39], 0 offset:112 ; 4-byte Folded Spill
	ds_write_b128 v38, v[12:15] offset:32
	ds_write_b128 v36, v[4:7]
	ds_write_b128 v36, v[16:19] offset:16
	buffer_store_dword v36, off, s[36:39], 0 offset:104 ; 4-byte Folded Spill
	ds_write_b128 v36, v[20:23] offset:32
	s_and_saveexec_b32 s0, vcc_lo
	s_cbranch_execz .LBB0_7
; %bb.6:
	v_add_f64 v[0:1], v[26:27], v[30:31]
	v_add_f64 v[4:5], v[24:25], v[28:29]
	;; [unrolled: 1-line block ×4, first 2 shown]
	buffer_load_dword v4, off, s[36:39], 0 offset:108 ; 4-byte Folded Reload
	s_waitcnt vmcnt(0)
	v_lshlrev_b32_e32 v4, 4, v4
	ds_write_b128 v4, v[112:115] offset:16
	ds_write_b128 v4, v[0:3]
	ds_write_b128 v4, v[104:107] offset:32
.LBB0_7:
	s_or_b32 exec_lo, exec_lo, s0
	v_and_b32_e32 v76, 0xff, v202
	s_waitcnt lgkmcnt(0)
	s_waitcnt_vscnt null, 0x0
	s_barrier
	buffer_gl0_inv
	s_mov_b32 s4, 0x37e14327
	v_mul_lo_u16 v0, 0xab, v76
	s_mov_b32 s18, 0xe976ee23
	s_mov_b32 s5, 0x3fe948f6
	s_mov_b32 s19, 0xbfe11646
	s_mov_b32 s12, 0x429ad128
	v_lshrrev_b16 v77, 9, v0
	s_mov_b32 s0, 0x36b3c0b5
	s_mov_b32 s13, 0x3febfeb5
	;; [unrolled: 1-line block ×4, first 2 shown]
	v_mul_lo_u16 v0, v77, 3
	s_mov_b32 s26, 0xb247c609
	s_mov_b32 s15, 0xbff2aaaa
	;; [unrolled: 1-line block ×4, first 2 shown]
	v_sub_nc_u16 v0, v202, v0
	s_mov_b32 s17, 0x3fe77f67
	s_mov_b32 s21, 0xbfe77f67
	;; [unrolled: 1-line block ×4, first 2 shown]
	v_and_b32_e32 v78, 0xff, v0
	s_mov_b32 s22, s26
	s_mov_b32 s24, 0x37c3f68c
	;; [unrolled: 1-line block ×3, first 2 shown]
                                        ; implicit-def: $vgpr132_vgpr133
	v_mul_u32_u24_e32 v0, 6, v78
	v_lshlrev_b32_e32 v0, 4, v0
	s_clause 0x5
	global_load_dwordx4 v[28:31], v0, s[2:3]
	global_load_dwordx4 v[24:27], v0, s[2:3] offset:16
	global_load_dwordx4 v[32:35], v0, s[2:3] offset:80
	global_load_dwordx4 v[44:47], v0, s[2:3] offset:64
	global_load_dwordx4 v[40:43], v0, s[2:3] offset:32
	global_load_dwordx4 v[36:39], v0, s[2:3] offset:48
	ds_read_b128 v[0:3], v255 offset:3696
	ds_read_b128 v[4:7], v255 offset:7392
	ds_read_b128 v[8:11], v255 offset:22176
	ds_read_b128 v[12:15], v255 offset:18480
	ds_read_b128 v[16:19], v255 offset:11088
	ds_read_b128 v[20:23], v255 offset:14784
	ds_read_b128 v[48:51], v255
	s_waitcnt vmcnt(0) lgkmcnt(0)
	s_barrier
	buffer_gl0_inv
	v_mul_f64 v[52:53], v[2:3], v[30:31]
	v_mul_f64 v[54:55], v[0:1], v[30:31]
	;; [unrolled: 1-line block ×12, first 2 shown]
	v_fma_f64 v[0:1], v[0:1], v[28:29], -v[52:53]
	v_fma_f64 v[2:3], v[2:3], v[28:29], v[54:55]
	v_fma_f64 v[4:5], v[4:5], v[24:25], -v[56:57]
	v_fma_f64 v[6:7], v[6:7], v[24:25], v[58:59]
	;; [unrolled: 2-line block ×6, first 2 shown]
	v_add_f64 v[52:53], v[0:1], v[8:9]
	v_add_f64 v[54:55], v[2:3], v[10:11]
	;; [unrolled: 1-line block ×4, first 2 shown]
	v_add_f64 v[4:5], v[4:5], -v[12:13]
	v_add_f64 v[6:7], v[6:7], -v[14:15]
	v_add_f64 v[12:13], v[16:17], v[20:21]
	v_add_f64 v[14:15], v[18:19], v[22:23]
	v_add_f64 v[16:17], v[20:21], -v[16:17]
	v_add_f64 v[18:19], v[22:23], -v[18:19]
	;; [unrolled: 1-line block ×4, first 2 shown]
	v_add_f64 v[0:1], v[56:57], v[52:53]
	v_add_f64 v[2:3], v[58:59], v[54:55]
	v_add_f64 v[20:21], v[52:53], -v[12:13]
	v_add_f64 v[22:23], v[54:55], -v[14:15]
	;; [unrolled: 1-line block ×6, first 2 shown]
	v_add_f64 v[4:5], v[16:17], v[4:5]
	v_add_f64 v[6:7], v[18:19], v[6:7]
	v_add_f64 v[16:17], v[8:9], -v[16:17]
	v_add_f64 v[18:19], v[10:11], -v[18:19]
	v_add_f64 v[68:69], v[12:13], v[0:1]
	v_add_f64 v[70:71], v[14:15], v[2:3]
	v_add_f64 v[12:13], v[12:13], -v[56:57]
	v_add_f64 v[14:15], v[14:15], -v[58:59]
	v_mul_lo_u16 v0, 0x87, v76
	v_mul_f64 v[20:21], v[20:21], s[4:5]
	v_mul_f64 v[22:23], v[22:23], s[4:5]
	;; [unrolled: 1-line block ×4, first 2 shown]
	v_lshrrev_b16 v76, 8, v0
	v_mul_f64 v[72:73], v[64:65], s[12:13]
	v_mul_f64 v[74:75], v[66:67], s[12:13]
	v_add_f64 v[4:5], v[4:5], v[8:9]
	v_add_f64 v[6:7], v[6:7], v[10:11]
	v_sub_nc_u16 v79, v202, v76
	v_add_f64 v[0:1], v[48:49], v[68:69]
	v_add_f64 v[2:3], v[50:51], v[70:71]
	v_add_f64 v[48:49], v[56:57], -v[52:53]
	v_add_f64 v[50:51], v[58:59], -v[54:55]
	v_mul_f64 v[52:53], v[12:13], s[0:1]
	v_mul_f64 v[54:55], v[14:15], s[0:1]
	v_fma_f64 v[8:9], v[12:13], s[0:1], v[20:21]
	v_fma_f64 v[10:11], v[14:15], s[0:1], v[22:23]
	;; [unrolled: 1-line block ×4, first 2 shown]
	v_fma_f64 v[56:57], v[64:65], s[12:13], -v[60:61]
	v_fma_f64 v[58:59], v[66:67], s[12:13], -v[62:63]
	;; [unrolled: 1-line block ×4, first 2 shown]
	v_fma_f64 v[60:61], v[68:69], s[14:15], v[0:1]
	v_fma_f64 v[62:63], v[70:71], s[14:15], v[2:3]
	v_fma_f64 v[20:21], v[48:49], s[20:21], -v[20:21]
	v_fma_f64 v[22:23], v[50:51], s[20:21], -v[22:23]
	;; [unrolled: 1-line block ×4, first 2 shown]
	v_lshrrev_b16 v52, 1, v79
	v_fma_f64 v[54:55], v[6:7], s[24:25], v[14:15]
	v_fma_f64 v[56:57], v[4:5], s[24:25], v[56:57]
	v_and_b32_e32 v72, 0x7f, v52
	v_fma_f64 v[52:53], v[4:5], s[24:25], v[12:13]
	v_fma_f64 v[64:65], v[4:5], s[24:25], v[16:17]
	;; [unrolled: 1-line block ×4, first 2 shown]
	v_add_nc_u16 v4, v72, v76
	v_lshrrev_b16 v4, 4, v4
	v_add_f64 v[68:69], v[8:9], v[60:61]
	v_add_f64 v[70:71], v[10:11], v[62:63]
	v_add_f64 v[20:21], v[20:21], v[60:61]
	v_add_f64 v[22:23], v[22:23], v[62:63]
	v_add_f64 v[16:17], v[48:49], v[60:61]
	v_add_f64 v[18:19], v[50:51], v[62:63]
	v_and_b32_e32 v100, 15, v4
	v_mov_b32_e32 v60, 21
	v_mul_lo_u16 v61, v100, 21
	v_add_f64 v[4:5], v[54:55], v[68:69]
	v_add_f64 v[6:7], v[70:71], -v[52:53]
	v_add_f64 v[8:9], v[66:67], v[20:21]
	v_add_f64 v[10:11], v[22:23], -v[64:65]
	v_add_f64 v[12:13], v[16:17], -v[58:59]
	v_add_f64 v[14:15], v[56:57], v[18:19]
	v_add_f64 v[16:17], v[58:59], v[16:17]
	v_add_f64 v[18:19], v[18:19], -v[56:57]
	v_add_f64 v[50:51], v[52:53], v[70:71]
	v_sub_nc_u16 v53, v202, v61
	v_add_f64 v[20:21], v[20:21], -v[66:67]
	v_add_f64 v[22:23], v[64:65], v[22:23]
	v_add_f64 v[48:49], v[68:69], -v[54:55]
	v_mul_u32_u24_sdwa v52, v77, v60 dst_sel:DWORD dst_unused:UNUSED_PAD src0_sel:WORD_0 src1_sel:DWORD
	v_and_b32_e32 v101, 0xff, v53
	v_add_lshl_u32 v198, v52, v78, 4
	v_mad_u64_u32 v[60:61], null, 0x60, v101, s[2:3]
	ds_write_b128 v198, v[0:3]
	ds_write_b128 v198, v[4:7] offset:48
	ds_write_b128 v198, v[8:11] offset:96
	;; [unrolled: 1-line block ×6, first 2 shown]
	s_waitcnt lgkmcnt(0)
	s_barrier
	buffer_gl0_inv
	s_clause 0x5
	global_load_dwordx4 v[52:55], v[60:61], off offset:288
	global_load_dwordx4 v[48:51], v[60:61], off offset:304
	;; [unrolled: 1-line block ×6, first 2 shown]
	ds_read_b128 v[0:3], v255 offset:3696
	ds_read_b128 v[4:7], v255 offset:7392
	;; [unrolled: 1-line block ×6, first 2 shown]
	ds_read_b128 v[72:75], v255
	s_waitcnt vmcnt(0) lgkmcnt(0)
	s_barrier
	buffer_gl0_inv
	v_mul_f64 v[76:77], v[2:3], v[54:55]
	v_mul_f64 v[78:79], v[0:1], v[54:55]
	v_mul_f64 v[80:81], v[6:7], v[50:51]
	v_mul_f64 v[82:83], v[4:5], v[50:51]
	v_mul_f64 v[84:85], v[10:11], v[58:59]
	v_mul_f64 v[86:87], v[8:9], v[58:59]
	v_mul_f64 v[88:89], v[14:15], v[70:71]
	v_mul_f64 v[90:91], v[12:13], v[70:71]
	v_mul_f64 v[92:93], v[18:19], v[66:67]
	v_mul_f64 v[94:95], v[16:17], v[66:67]
	v_mul_f64 v[96:97], v[22:23], v[62:63]
	v_mul_f64 v[98:99], v[20:21], v[62:63]
	v_fma_f64 v[0:1], v[0:1], v[52:53], -v[76:77]
	v_fma_f64 v[2:3], v[2:3], v[52:53], v[78:79]
	v_fma_f64 v[4:5], v[4:5], v[48:49], -v[80:81]
	v_fma_f64 v[6:7], v[6:7], v[48:49], v[82:83]
	v_fma_f64 v[8:9], v[8:9], v[56:57], -v[84:85]
	v_fma_f64 v[10:11], v[10:11], v[56:57], v[86:87]
	v_fma_f64 v[12:13], v[12:13], v[68:69], -v[88:89]
	v_fma_f64 v[14:15], v[14:15], v[68:69], v[90:91]
	v_fma_f64 v[16:17], v[16:17], v[64:65], -v[92:93]
	v_fma_f64 v[18:19], v[18:19], v[64:65], v[94:95]
	v_fma_f64 v[20:21], v[20:21], v[60:61], -v[96:97]
	v_fma_f64 v[22:23], v[22:23], v[60:61], v[98:99]
	v_add_f64 v[76:77], v[0:1], v[8:9]
	v_add_f64 v[78:79], v[2:3], v[10:11]
	v_add_f64 v[80:81], v[4:5], v[12:13]
	v_add_f64 v[82:83], v[6:7], v[14:15]
	v_add_f64 v[4:5], v[4:5], -v[12:13]
	v_add_f64 v[6:7], v[6:7], -v[14:15]
	v_add_f64 v[12:13], v[16:17], v[20:21]
	v_add_f64 v[16:17], v[20:21], -v[16:17]
	v_add_f64 v[14:15], v[22:23], -v[18:19]
	v_add_f64 v[18:19], v[18:19], v[22:23]
	v_add_f64 v[0:1], v[0:1], -v[8:9]
	v_add_f64 v[2:3], v[2:3], -v[10:11]
	v_add_f64 v[20:21], v[80:81], v[76:77]
	v_add_f64 v[22:23], v[82:83], v[78:79]
	v_add_f64 v[8:9], v[76:77], -v[12:13]
	v_add_f64 v[10:11], v[16:17], -v[4:5]
	;; [unrolled: 1-line block ×6, first 2 shown]
	v_add_f64 v[4:5], v[16:17], v[4:5]
	v_add_f64 v[6:7], v[14:15], v[6:7]
	v_add_f64 v[76:77], v[80:81], -v[76:77]
	v_add_f64 v[16:17], v[0:1], -v[16:17]
	;; [unrolled: 1-line block ×4, first 2 shown]
	v_add_f64 v[20:21], v[12:13], v[20:21]
	v_add_f64 v[22:23], v[18:19], v[22:23]
	v_add_f64 v[12:13], v[12:13], -v[80:81]
	v_add_f64 v[18:19], v[18:19], -v[82:83]
	v_mul_f64 v[8:9], v[8:9], s[4:5]
	v_mul_f64 v[10:11], v[10:11], s[18:19]
	;; [unrolled: 1-line block ×6, first 2 shown]
	v_add_f64 v[0:1], v[4:5], v[0:1]
	v_add_f64 v[2:3], v[6:7], v[2:3]
	;; [unrolled: 1-line block ×4, first 2 shown]
	v_mul_f64 v[72:73], v[12:13], s[0:1]
	v_mul_f64 v[74:75], v[18:19], s[0:1]
	v_fma_f64 v[4:5], v[12:13], s[0:1], v[8:9]
	v_fma_f64 v[6:7], v[88:89], s[12:13], -v[10:11]
	v_fma_f64 v[10:11], v[16:17], s[26:27], v[10:11]
	v_fma_f64 v[12:13], v[14:15], s[26:27], v[80:81]
	v_fma_f64 v[80:81], v[90:91], s[12:13], -v[80:81]
	v_fma_f64 v[18:19], v[18:19], s[0:1], v[82:83]
	v_fma_f64 v[16:17], v[16:17], s[22:23], -v[84:85]
	v_fma_f64 v[14:15], v[14:15], s[22:23], -v[86:87]
	;; [unrolled: 1-line block ×3, first 2 shown]
	v_cmp_gt_u16_e64 s0, 0x93, v202
	v_fma_f64 v[20:21], v[20:21], s[14:15], v[120:121]
	v_fma_f64 v[22:23], v[22:23], s[14:15], v[122:123]
	v_fma_f64 v[72:73], v[76:77], s[16:17], -v[72:73]
	v_fma_f64 v[74:75], v[78:79], s[16:17], -v[74:75]
	;; [unrolled: 1-line block ×3, first 2 shown]
	v_fma_f64 v[6:7], v[0:1], s[24:25], v[6:7]
	v_fma_f64 v[10:11], v[0:1], s[24:25], v[10:11]
	;; [unrolled: 1-line block ×6, first 2 shown]
	v_add_f64 v[4:5], v[4:5], v[20:21]
	v_add_f64 v[18:19], v[18:19], v[22:23]
	;; [unrolled: 1-line block ×7, first 2 shown]
	v_add_f64 v[94:95], v[18:19], -v[10:11]
	v_add_f64 v[108:109], v[72:73], -v[78:79]
	v_add_f64 v[110:111], v[6:7], v[74:75]
	v_add_f64 v[128:129], v[78:79], v[72:73]
	v_add_f64 v[130:131], v[74:75], -v[6:7]
	v_add_f64 v[96:97], v[2:3], v[8:9]
	v_add_f64 v[98:99], v[14:15], -v[0:1]
	v_add_f64 v[116:117], v[8:9], -v[2:3]
	v_add_f64 v[118:119], v[0:1], v[14:15]
	v_add_f64 v[124:125], v[4:5], -v[12:13]
	v_add_f64 v[126:127], v[10:11], v[18:19]
	v_mov_b32_e32 v0, 0x93
	v_mul_u32_u24_sdwa v0, v100, v0 dst_sel:DWORD dst_unused:UNUSED_PAD src0_sel:WORD_0 src1_sel:DWORD
	v_add_lshl_u32 v201, v0, v101, 4
	ds_write_b128 v201, v[120:123]
	ds_write_b128 v201, v[92:95] offset:336
	ds_write_b128 v201, v[96:99] offset:672
	;; [unrolled: 1-line block ×6, first 2 shown]
	s_waitcnt lgkmcnt(0)
	s_barrier
	buffer_gl0_inv
                                        ; implicit-def: $vgpr100_vgpr101
	s_and_saveexec_b32 s1, s0
	s_cbranch_execz .LBB0_9
; %bb.8:
	ds_read_b128 v[120:123], v255
	ds_read_b128 v[92:95], v255 offset:2352
	ds_read_b128 v[96:99], v255 offset:4704
	;; [unrolled: 1-line block ×10, first 2 shown]
.LBB0_9:
	s_or_b32 exec_lo, exec_lo, s1
	v_add_nc_u32_e32 v0, 0xffffff6d, v202
	s_mov_b32 s19, 0xbfed1bb4
	s_mov_b32 s18, 0x8eee2c13
	;; [unrolled: 1-line block ×4, first 2 shown]
	v_cndmask_b32_e64 v0, v0, v202, s0
	s_mov_b32 s4, 0xd9c712b6
	s_mov_b32 s5, 0x3fda9628
	;; [unrolled: 1-line block ×4, first 2 shown]
	v_mul_i32_i24_e32 v1, 0xa0, v0
	v_mul_hi_i32_i24_e32 v0, 0xa0, v0
	s_mov_b32 s12, 0x640f44db
	s_mov_b32 s13, 0xbfc2375f
	;; [unrolled: 1-line block ×3, first 2 shown]
	v_add_co_u32 v8, s1, s2, v1
	v_add_co_ci_u32_e64 v9, s1, s3, v0, s1
	s_mov_b32 s2, 0x8764f0ba
	v_add_co_u32 v0, s1, 0x800, v8
	v_add_co_ci_u32_e64 v1, s1, 0, v9, s1
	v_add_co_u32 v2, s1, 0x980, v8
	v_add_co_ci_u32_e64 v3, s1, 0, v9, s1
	global_load_dwordx4 v[76:79], v[0:1], off offset:256
	s_mov_b32 s3, 0x3feaeb8c
	s_mov_b32 s25, 0xbfe82f19
	global_load_dwordx4 v[80:83], v[2:3], off offset:16
	v_add_co_u32 v2, s1, 0x900, v8
	v_add_co_ci_u32_e64 v3, s1, 0, v9, s1
	v_add_co_u32 v8, s1, 0x940, v8
	s_clause 0x1
	global_load_dwordx4 v[72:75], v[2:3], off offset:16
	global_load_dwordx4 v[84:87], v[2:3], off offset:48
	v_add_co_ci_u32_e64 v9, s1, 0, v9, s1
	s_mov_b32 s14, 0x7f775887
	s_mov_b32 s15, 0xbfe4f49e
	;; [unrolled: 1-line block ×3, first 2 shown]
	global_load_dwordx4 v[88:91], v[8:9], off offset:48
	s_mov_b32 s27, 0xbfd207e7
	s_mov_b32 s16, 0x9bcd5057
	;; [unrolled: 1-line block ×9, first 2 shown]
	s_waitcnt vmcnt(4) lgkmcnt(9)
	v_mul_f64 v[4:5], v[92:93], v[78:79]
	v_mul_f64 v[6:7], v[94:95], v[78:79]
	v_fma_f64 v[136:137], v[94:95], v[76:77], v[4:5]
	v_fma_f64 v[14:15], v[92:93], v[76:77], -v[6:7]
	global_load_dwordx4 v[92:95], v[2:3], off offset:32
	s_waitcnt vmcnt(3) lgkmcnt(8)
	v_mul_f64 v[2:3], v[98:99], v[74:75]
	s_waitcnt lgkmcnt(0)
	v_mul_f64 v[4:5], v[100:101], v[82:83]
	v_mul_f64 v[6:7], v[102:103], v[82:83]
	v_fma_f64 v[16:17], v[96:97], v[72:73], -v[2:3]
	v_mul_f64 v[2:3], v[96:97], v[74:75]
	v_fma_f64 v[12:13], v[102:103], v[80:81], v[4:5]
	v_fma_f64 v[10:11], v[100:101], v[80:81], -v[6:7]
	v_fma_f64 v[18:19], v[98:99], v[72:73], v[2:3]
	s_clause 0x1
	global_load_dwordx4 v[96:99], v[0:1], off offset:384
	global_load_dwordx4 v[100:103], v[0:1], off offset:320
	v_add_f64 v[213:214], v[14:15], v[10:11]
	s_waitcnt vmcnt(1)
	v_mul_f64 v[0:1], v[132:133], v[98:99]
	v_fma_f64 v[20:21], v[134:135], v[96:97], v[0:1]
	v_mul_f64 v[0:1], v[134:135], v[98:99]
	v_add_f64 v[4:5], v[18:19], -v[20:21]
	v_fma_f64 v[22:23], v[132:133], v[96:97], -v[0:1]
	v_mul_f64 v[0:1], v[110:111], v[94:95]
	v_mul_f64 v[6:7], v[4:5], s[18:19]
	v_add_f64 v[199:200], v[16:17], v[22:23]
	v_fma_f64 v[169:170], v[108:109], v[92:93], -v[0:1]
	v_mul_f64 v[0:1], v[108:109], v[94:95]
	v_mul_f64 v[235:236], v[4:5], s[24:25]
	;; [unrolled: 1-line block ×4, first 2 shown]
	v_fma_f64 v[171:172], v[110:111], v[92:93], v[0:1]
	v_mul_f64 v[0:1], v[106:107], v[90:91]
	v_fma_f64 v[152:153], v[104:105], v[88:89], -v[0:1]
	v_mul_f64 v[0:1], v[104:105], v[90:91]
	v_add_f64 v[195:196], v[169:170], v[152:153]
	v_fma_f64 v[154:155], v[106:107], v[88:89], v[0:1]
	s_clause 0x1
	global_load_dwordx4 v[104:107], v[8:9], off offset:32
	global_load_dwordx4 v[108:111], v[8:9], off offset:16
	v_mul_f64 v[0:1], v[128:129], v[86:87]
	buffer_store_dword v6, off, s[36:39], 0 offset:220 ; 4-byte Folded Spill
	buffer_store_dword v7, off, s[36:39], 0 offset:224 ; 4-byte Folded Spill
	;; [unrolled: 1-line block ×6, first 2 shown]
	v_add_f64 v[134:135], v[169:170], -v[152:153]
	v_add_f64 v[132:133], v[171:172], -v[154:155]
	v_add_f64 v[203:204], v[171:172], v[154:155]
	v_fma_f64 v[165:166], v[130:131], v[84:85], v[0:1]
	v_mul_f64 v[0:1], v[130:131], v[86:87]
	v_mul_f64 v[231:232], v[134:135], s[28:29]
	;; [unrolled: 1-line block ×4, first 2 shown]
	v_fma_f64 v[167:168], v[128:129], v[84:85], -v[0:1]
	s_waitcnt vmcnt(1)
	v_mul_f64 v[0:1], v[112:113], v[106:107]
	v_fma_f64 v[6:7], v[199:200], s[4:5], v[6:7]
	v_add_f64 v[14:15], v[14:15], -v[10:11]
	v_fma_f64 v[157:158], v[114:115], v[104:105], v[0:1]
	v_mul_f64 v[0:1], v[114:115], v[106:107]
	v_mul_f64 v[221:222], v[14:15], s[22:23]
	;; [unrolled: 1-line block ×4, first 2 shown]
	v_add_f64 v[146:147], v[165:166], -v[157:158]
	v_fma_f64 v[159:160], v[112:113], v[104:105], -v[0:1]
	v_mul_f64 v[0:1], v[118:119], v[102:103]
	v_add_f64 v[191:192], v[165:166], v[157:158]
	v_mul_f64 v[217:218], v[146:147], s[30:31]
	v_add_f64 v[183:184], v[167:168], v[159:160]
	v_fma_f64 v[173:174], v[116:117], v[100:101], -v[0:1]
	v_mul_f64 v[0:1], v[116:117], v[102:103]
	v_add_f64 v[148:149], v[167:168], -v[159:160]
	v_mul_f64 v[233:234], v[146:147], s[22:23]
	v_mul_f64 v[249:250], v[146:147], s[26:27]
	v_fma_f64 v[175:176], v[118:119], v[100:101], v[0:1]
	s_waitcnt vmcnt(0)
	v_mul_f64 v[0:1], v[126:127], v[110:111]
	v_mul_f64 v[219:220], v[148:149], s[30:31]
	;; [unrolled: 1-line block ×4, first 2 shown]
	v_fma_f64 v[161:162], v[124:125], v[108:109], -v[0:1]
	v_mul_f64 v[0:1], v[124:125], v[110:111]
	v_add_f64 v[179:180], v[173:174], v[161:162]
	v_fma_f64 v[163:164], v[126:127], v[108:109], v[0:1]
	v_add_f64 v[0:1], v[136:137], -v[12:13]
	buffer_store_dword v12, off, s[36:39], 0 offset:124 ; 4-byte Folded Spill
	buffer_store_dword v13, off, s[36:39], 0 offset:128 ; 4-byte Folded Spill
	;; [unrolled: 1-line block ×12, first 2 shown]
	v_add_f64 v[144:145], v[173:174], -v[161:162]
	v_add_f64 v[150:151], v[175:176], -v[163:164]
	v_mul_f64 v[215:216], v[0:1], s[22:23]
	v_add_f64 v[187:188], v[175:176], v[163:164]
	v_mul_f64 v[181:182], v[0:1], s[24:25]
	v_mul_f64 v[142:143], v[0:1], s[26:27]
	;; [unrolled: 1-line block ×5, first 2 shown]
	v_fma_f64 v[2:3], v[213:214], s[2:3], v[215:216]
	v_mul_f64 v[225:226], v[150:151], s[24:25]
	v_add_f64 v[2:3], v[120:121], v[2:3]
	v_add_f64 v[2:3], v[6:7], v[2:3]
	;; [unrolled: 1-line block ×3, first 2 shown]
	v_add_f64 v[16:17], v[16:17], -v[22:23]
	v_add_f64 v[207:208], v[18:19], v[20:21]
	v_mul_f64 v[20:21], v[0:1], s[20:21]
	v_mul_f64 v[136:137], v[14:15], s[20:21]
	v_fma_f64 v[6:7], v[223:224], s[2:3], -v[221:222]
	v_mul_f64 v[205:206], v[16:17], s[18:19]
	v_mul_f64 v[239:240], v[16:17], s[24:25]
	;; [unrolled: 1-line block ×4, first 2 shown]
	v_add_f64 v[6:7], v[122:123], v[6:7]
	v_fma_f64 v[8:9], v[207:208], s[4:5], -v[205:206]
	v_fma_f64 v[12:13], v[207:208], s[14:15], -v[239:240]
	;; [unrolled: 1-line block ×3, first 2 shown]
	v_add_f64 v[6:7], v[8:9], v[6:7]
	v_mul_f64 v[8:9], v[132:133], s[20:21]
	buffer_store_dword v8, off, s[36:39], 0 offset:212 ; 4-byte Folded Spill
	buffer_store_dword v9, off, s[36:39], 0 offset:216 ; 4-byte Folded Spill
	v_fma_f64 v[8:9], v[195:196], s[12:13], v[8:9]
	v_add_f64 v[2:3], v[8:9], v[2:3]
	v_mul_f64 v[8:9], v[134:135], s[20:21]
	buffer_store_dword v8, off, s[36:39], 0 offset:228 ; 4-byte Folded Spill
	buffer_store_dword v9, off, s[36:39], 0 offset:232 ; 4-byte Folded Spill
	v_fma_f64 v[8:9], v[203:204], s[12:13], -v[8:9]
	v_add_f64 v[6:7], v[8:9], v[6:7]
	v_mul_f64 v[8:9], v[146:147], s[24:25]
	buffer_store_dword v8, off, s[36:39], 0 offset:188 ; 4-byte Folded Spill
	buffer_store_dword v9, off, s[36:39], 0 offset:192 ; 4-byte Folded Spill
	v_fma_f64 v[8:9], v[183:184], s[14:15], v[8:9]
	v_add_f64 v[2:3], v[8:9], v[2:3]
	v_mul_f64 v[8:9], v[148:149], s[24:25]
	buffer_store_dword v8, off, s[36:39], 0 offset:204 ; 4-byte Folded Spill
	buffer_store_dword v9, off, s[36:39], 0 offset:208 ; 4-byte Folded Spill
	v_fma_f64 v[8:9], v[191:192], s[14:15], -v[8:9]
	v_add_f64 v[6:7], v[8:9], v[6:7]
	v_mul_f64 v[8:9], v[150:151], s[26:27]
	buffer_store_dword v8, off, s[36:39], 0 offset:180 ; 4-byte Folded Spill
	buffer_store_dword v9, off, s[36:39], 0 offset:184 ; 4-byte Folded Spill
	v_fma_f64 v[8:9], v[179:180], s[16:17], v[8:9]
	v_add_f64 v[112:113], v[8:9], v[2:3]
	v_mul_f64 v[2:3], v[144:145], s[26:27]
	buffer_store_dword v2, off, s[36:39], 0 offset:196 ; 4-byte Folded Spill
	buffer_store_dword v3, off, s[36:39], 0 offset:200 ; 4-byte Folded Spill
	v_fma_f64 v[8:9], v[199:200], s[14:15], v[235:236]
	v_fma_f64 v[2:3], v[187:188], s[16:17], -v[2:3]
	v_add_f64 v[114:115], v[2:3], v[6:7]
	v_mul_f64 v[2:3], v[0:1], s[18:19]
	v_fma_f64 v[0:1], v[213:214], s[16:17], v[142:143]
	v_fma_f64 v[6:7], v[213:214], s[4:5], v[2:3]
	v_add_f64 v[0:1], v[120:121], v[0:1]
	v_add_f64 v[6:7], v[120:121], v[6:7]
	;; [unrolled: 1-line block ×3, first 2 shown]
	v_mul_f64 v[8:9], v[14:15], s[18:19]
	s_mov_b32 s19, 0x3fed1bb4
	v_fma_f64 v[14:15], v[207:208], s[2:3], -v[189:190]
	v_mul_f64 v[245:246], v[132:133], s[18:19]
	v_mul_f64 v[247:248], v[134:135], s[18:19]
	v_mul_f64 v[241:242], v[150:151], s[18:19]
	v_mul_f64 v[243:244], v[144:145], s[18:19]
	v_fma_f64 v[10:11], v[223:224], s[4:5], -v[8:9]
	v_add_f64 v[10:11], v[122:123], v[10:11]
	v_add_f64 v[10:11], v[12:13], v[10:11]
	v_fma_f64 v[12:13], v[195:196], s[16:17], v[229:230]
	v_add_f64 v[6:7], v[12:13], v[6:7]
	v_fma_f64 v[12:13], v[203:204], s[16:17], -v[231:232]
	v_add_f64 v[10:11], v[12:13], v[10:11]
	v_fma_f64 v[12:13], v[183:184], s[12:13], v[217:218]
	v_add_f64 v[6:7], v[12:13], v[6:7]
	v_fma_f64 v[12:13], v[191:192], s[12:13], -v[219:220]
	;; [unrolled: 4-line block ×3, first 2 shown]
	v_add_f64 v[118:119], v[6:7], v[10:11]
	v_fma_f64 v[6:7], v[213:214], s[12:13], v[20:21]
	v_fma_f64 v[10:11], v[199:200], s[16:17], v[251:252]
	v_add_f64 v[6:7], v[120:121], v[6:7]
	v_add_f64 v[10:11], v[10:11], v[6:7]
	v_fma_f64 v[6:7], v[223:224], s[12:13], -v[136:137]
	v_add_f64 v[12:13], v[122:123], v[6:7]
	v_mul_f64 v[6:7], v[16:17], s[28:29]
	v_fma_f64 v[18:19], v[207:208], s[16:17], -v[6:7]
	v_add_f64 v[12:13], v[18:19], v[12:13]
	v_fma_f64 v[18:19], v[195:196], s[4:5], v[245:246]
	v_add_f64 v[10:11], v[18:19], v[10:11]
	v_fma_f64 v[18:19], v[203:204], s[4:5], -v[247:248]
	v_add_f64 v[12:13], v[18:19], v[12:13]
	v_fma_f64 v[18:19], v[183:184], s[2:3], v[233:234]
	v_add_f64 v[10:11], v[18:19], v[10:11]
	;; [unrolled: 4-line block ×3, first 2 shown]
	v_fma_f64 v[10:11], v[187:188], s[14:15], -v[227:228]
	v_mul_f64 v[18:19], v[4:5], s[30:31]
	v_fma_f64 v[4:5], v[199:200], s[2:3], v[185:186]
	v_add_f64 v[126:127], v[10:11], v[12:13]
	v_fma_f64 v[10:11], v[213:214], s[14:15], v[181:182]
	v_fma_f64 v[12:13], v[199:200], s[12:13], v[18:19]
	v_add_f64 v[0:1], v[4:5], v[0:1]
	v_fma_f64 v[4:5], v[223:224], s[16:17], -v[193:194]
	v_add_f64 v[10:11], v[120:121], v[10:11]
	v_add_f64 v[4:5], v[122:123], v[4:5]
	v_add_f64 v[12:13], v[12:13], v[10:11]
	v_fma_f64 v[10:11], v[223:224], s[14:15], -v[140:141]
	v_add_f64 v[4:5], v[14:15], v[4:5]
	v_add_f64 v[10:11], v[122:123], v[10:11]
	;; [unrolled: 1-line block ×3, first 2 shown]
	v_mul_f64 v[10:11], v[132:133], s[22:23]
	v_fma_f64 v[130:131], v[195:196], s[2:3], v[10:11]
	v_add_f64 v[130:131], v[130:131], v[12:13]
	v_mul_f64 v[12:13], v[134:135], s[22:23]
	v_fma_f64 v[138:139], v[203:204], s[2:3], -v[12:13]
	v_add_f64 v[128:129], v[138:139], v[128:129]
	v_fma_f64 v[138:139], v[183:184], s[16:17], v[249:250]
	v_add_f64 v[130:131], v[138:139], v[130:131]
	v_fma_f64 v[138:139], v[191:192], s[16:17], -v[253:254]
	v_add_f64 v[138:139], v[138:139], v[128:129]
	v_fma_f64 v[128:129], v[179:180], s[4:5], v[241:242]
	v_add_f64 v[128:129], v[128:129], v[130:131]
	v_fma_f64 v[130:131], v[187:188], s[4:5], -v[243:244]
	v_add_f64 v[130:131], v[130:131], v[138:139]
	v_mul_f64 v[138:139], v[132:133], s[24:25]
	v_fma_f64 v[14:15], v[195:196], s[14:15], v[138:139]
	v_add_f64 v[0:1], v[14:15], v[0:1]
	v_fma_f64 v[14:15], v[203:204], s[14:15], -v[177:178]
	v_add_f64 v[4:5], v[14:15], v[4:5]
	v_mul_f64 v[14:15], v[146:147], s[18:19]
	v_fma_f64 v[16:17], v[183:184], s[4:5], v[14:15]
	v_add_f64 v[132:133], v[16:17], v[0:1]
	v_mul_f64 v[16:17], v[148:149], s[18:19]
	v_fma_f64 v[0:1], v[191:192], s[4:5], -v[16:17]
	v_add_f64 v[134:135], v[0:1], v[4:5]
	v_mul_f64 v[0:1], v[150:151], s[20:21]
	v_mul_f64 v[4:5], v[144:145], s[20:21]
	v_fma_f64 v[144:145], v[179:180], s[12:13], v[0:1]
	v_add_f64 v[132:133], v[144:145], v[132:133]
	v_fma_f64 v[144:145], v[187:188], s[12:13], -v[4:5]
	v_add_f64 v[134:135], v[144:145], v[134:135]
	s_and_saveexec_b32 s1, s0
	s_cbranch_execz .LBB0_11
; %bb.10:
	v_mul_f64 v[150:151], v[213:214], s[4:5]
	v_mul_f64 v[144:145], v[223:224], s[16:17]
	;; [unrolled: 1-line block ×4, first 2 shown]
	v_add_f64 v[2:3], v[150:151], -v[2:3]
	v_mul_f64 v[150:151], v[213:214], s[12:13]
	v_add_f64 v[144:145], v[193:194], v[144:145]
	v_add_f64 v[142:143], v[146:147], -v[142:143]
	v_mul_f64 v[146:147], v[223:224], s[14:15]
	v_add_f64 v[148:149], v[148:149], -v[215:216]
	v_mul_f64 v[215:216], v[183:184], s[16:17]
	v_add_f64 v[2:3], v[120:121], v[2:3]
	v_add_f64 v[20:21], v[150:151], -v[20:21]
	v_mul_f64 v[150:151], v[213:214], s[14:15]
	v_add_f64 v[144:145], v[122:123], v[144:145]
	v_add_f64 v[140:141], v[140:141], v[146:147]
	v_mul_f64 v[146:147], v[223:224], s[12:13]
	v_add_f64 v[142:143], v[120:121], v[142:143]
	v_add_f64 v[215:216], v[215:216], -v[249:250]
	v_add_f64 v[20:21], v[120:121], v[20:21]
	v_add_f64 v[150:151], v[150:151], -v[181:182]
	s_clause 0x3
	buffer_load_dword v181, off, s[36:39], 0 offset:172
	buffer_load_dword v182, off, s[36:39], 0 offset:176
	;; [unrolled: 1-line block ×4, first 2 shown]
	v_add_f64 v[136:137], v[136:137], v[146:147]
	v_mul_f64 v[146:147], v[223:224], s[4:5]
	v_add_f64 v[140:141], v[122:123], v[140:141]
	v_add_f64 v[136:137], v[122:123], v[136:137]
	;; [unrolled: 1-line block ×3, first 2 shown]
	v_mul_f64 v[146:147], v[223:224], s[2:3]
	v_mul_f64 v[223:224], v[179:180], s[4:5]
	v_add_f64 v[8:9], v[122:123], v[8:9]
	v_add_f64 v[146:147], v[221:222], v[146:147]
	v_mul_f64 v[221:222], v[191:192], s[12:13]
	v_add_f64 v[223:224], v[223:224], -v[241:242]
	v_add_f64 v[219:220], v[219:220], v[221:222]
	v_mul_f64 v[221:222], v[183:184], s[12:13]
	v_add_f64 v[217:218], v[221:222], -v[217:218]
	s_waitcnt vmcnt(2)
	v_add_f64 v[181:182], v[122:123], v[181:182]
	s_waitcnt vmcnt(0)
	v_add_f64 v[193:194], v[120:121], v[193:194]
	v_add_f64 v[122:123], v[122:123], v[146:147]
	;; [unrolled: 1-line block ×4, first 2 shown]
	s_clause 0x3
	buffer_load_dword v148, off, s[36:39], 0 offset:140
	buffer_load_dword v149, off, s[36:39], 0 offset:144
	;; [unrolled: 1-line block ×4, first 2 shown]
	s_waitcnt vmcnt(2)
	v_add_f64 v[148:149], v[181:182], v[148:149]
	s_waitcnt vmcnt(0)
	v_add_f64 v[150:151], v[193:194], v[150:151]
	v_mul_f64 v[193:194], v[207:208], s[4:5]
	v_mul_f64 v[181:182], v[207:208], s[2:3]
	v_add_f64 v[148:149], v[148:149], v[171:172]
	v_add_f64 v[150:151], v[150:151], v[169:170]
	;; [unrolled: 1-line block ×3, first 2 shown]
	s_clause 0x3
	buffer_load_dword v205, off, s[36:39], 0 offset:220
	buffer_load_dword v206, off, s[36:39], 0 offset:224
	;; [unrolled: 1-line block ×4, first 2 shown]
	v_add_f64 v[181:182], v[189:190], v[181:182]
	v_mul_f64 v[189:190], v[199:200], s[2:3]
	v_mul_f64 v[169:170], v[207:208], s[16:17]
	;; [unrolled: 1-line block ×3, first 2 shown]
	v_add_f64 v[148:149], v[148:149], v[165:166]
	v_mul_f64 v[165:166], v[203:204], s[4:5]
	v_add_f64 v[150:151], v[150:151], v[167:168]
	v_mul_f64 v[167:168], v[195:196], s[4:5]
	v_add_f64 v[122:123], v[193:194], v[122:123]
	v_add_f64 v[144:145], v[181:182], v[144:145]
	v_add_f64 v[185:186], v[189:190], -v[185:186]
	v_mul_f64 v[189:190], v[207:208], s[12:13]
	v_add_f64 v[6:7], v[6:7], v[169:170]
	v_mul_f64 v[169:170], v[199:200], s[16:17]
	v_mul_f64 v[207:208], v[195:196], s[16:17]
	v_add_f64 v[171:172], v[239:240], v[171:172]
	v_add_f64 v[148:149], v[148:149], v[175:176]
	v_mul_f64 v[175:176], v[183:184], s[2:3]
	v_add_f64 v[150:151], v[150:151], v[173:174]
	v_mul_f64 v[173:174], v[191:192], s[2:3]
	v_add_f64 v[167:168], v[167:168], -v[245:246]
	v_add_f64 v[165:166], v[247:248], v[165:166]
	v_add_f64 v[142:143], v[185:186], v[142:143]
	;; [unrolled: 1-line block ×3, first 2 shown]
	v_mul_f64 v[189:190], v[199:200], s[12:13]
	v_add_f64 v[6:7], v[6:7], v[136:137]
	v_add_f64 v[207:208], v[207:208], -v[229:230]
	v_mov_b32_e32 v229, v202
	v_add_f64 v[169:170], v[169:170], -v[251:252]
	v_add_f64 v[8:9], v[171:172], v[8:9]
	v_add_f64 v[148:149], v[148:149], v[163:164]
	v_mul_f64 v[163:164], v[179:180], s[14:15]
	v_add_f64 v[150:151], v[150:151], v[161:162]
	v_add_f64 v[175:176], v[175:176], -v[233:234]
	v_add_f64 v[173:174], v[237:238], v[173:174]
	v_mul_f64 v[161:162], v[187:188], s[14:15]
	v_add_f64 v[22:23], v[22:23], v[140:141]
	v_add_f64 v[18:19], v[189:190], -v[18:19]
	v_mul_f64 v[189:190], v[199:200], s[14:15]
	v_mul_f64 v[199:200], v[199:200], s[4:5]
	v_add_f64 v[6:7], v[165:166], v[6:7]
	v_add_f64 v[20:21], v[169:170], v[20:21]
	v_add_f64 v[163:164], v[163:164], -v[225:226]
	v_add_f64 v[140:141], v[150:151], v[159:160]
	v_mul_f64 v[225:226], v[187:188], s[2:3]
	v_add_f64 v[161:162], v[227:228], v[161:162]
	v_add_f64 v[18:19], v[18:19], v[120:121]
	;; [unrolled: 1-line block ×3, first 2 shown]
	v_add_f64 v[189:190], v[189:190], -v[235:236]
	v_add_f64 v[20:21], v[167:168], v[20:21]
	v_add_f64 v[211:212], v[211:212], v[225:226]
	v_mul_f64 v[225:226], v[179:180], s[2:3]
	v_add_f64 v[2:3], v[189:190], v[2:3]
	v_add_f64 v[20:21], v[175:176], v[20:21]
	v_add_f64 v[209:210], v[225:226], -v[209:210]
	v_add_f64 v[2:3], v[207:208], v[2:3]
	s_waitcnt vmcnt(2)
	v_add_f64 v[199:200], v[199:200], -v[205:206]
	v_mul_f64 v[205:206], v[203:204], s[14:15]
	v_add_f64 v[136:137], v[199:200], v[146:147]
	v_add_f64 v[177:178], v[177:178], v[205:206]
	v_mul_f64 v[205:206], v[195:196], s[14:15]
	v_mul_f64 v[146:147], v[187:188], s[16:17]
	v_add_f64 v[144:145], v[177:178], v[144:145]
	v_add_f64 v[138:139], v[205:206], -v[138:139]
	v_mul_f64 v[205:206], v[203:204], s[2:3]
	v_add_f64 v[138:139], v[138:139], v[142:143]
	v_add_f64 v[12:13], v[12:13], v[205:206]
	v_mul_f64 v[205:206], v[195:196], s[2:3]
	v_mul_f64 v[195:196], v[195:196], s[12:13]
	v_add_f64 v[12:13], v[12:13], v[22:23]
	v_add_f64 v[10:11], v[205:206], -v[10:11]
	v_mul_f64 v[205:206], v[203:204], s[16:17]
	v_mul_f64 v[202:203], v[203:204], s[12:13]
	v_add_f64 v[10:11], v[10:11], v[18:19]
	v_add_f64 v[18:19], v[120:121], v[154:155]
	s_waitcnt vmcnt(0)
	v_add_f64 v[202:203], v[213:214], v[202:203]
	s_clause 0x3
	buffer_load_dword v213, off, s[36:39], 0 offset:212
	buffer_load_dword v214, off, s[36:39], 0 offset:216
	;; [unrolled: 1-line block ×4, first 2 shown]
	v_add_f64 v[120:121], v[140:141], v[152:153]
	v_add_f64 v[205:206], v[231:232], v[205:206]
	;; [unrolled: 1-line block ×4, first 2 shown]
	v_mov_b32_e32 v202, v229
	v_add_f64 v[8:9], v[205:206], v[8:9]
	v_add_f64 v[8:9], v[219:220], v[8:9]
	s_waitcnt vmcnt(2)
	v_add_f64 v[195:196], v[195:196], -v[213:214]
	v_mul_f64 v[213:214], v[191:192], s[4:5]
	v_add_f64 v[122:123], v[195:196], v[136:137]
	v_add_f64 v[16:17], v[16:17], v[213:214]
	v_mul_f64 v[213:214], v[183:184], s[4:5]
	v_mul_f64 v[136:137], v[179:180], s[16:17]
	;; [unrolled: 1-line block ×3, first 2 shown]
	v_add_f64 v[16:17], v[16:17], v[144:145]
	v_add_f64 v[14:15], v[213:214], -v[14:15]
	v_mul_f64 v[213:214], v[191:192], s[16:17]
	v_mul_f64 v[191:192], v[191:192], s[14:15]
	v_add_f64 v[14:15], v[14:15], v[138:139]
	v_add_f64 v[213:214], v[253:254], v[213:214]
	s_waitcnt vmcnt(0)
	v_add_f64 v[191:192], v[221:222], v[191:192]
	s_clause 0x5
	buffer_load_dword v221, off, s[36:39], 0 offset:188
	buffer_load_dword v222, off, s[36:39], 0 offset:192
	;; [unrolled: 1-line block ×6, first 2 shown]
	v_add_f64 v[138:139], v[173:174], v[6:7]
	v_add_f64 v[12:13], v[213:214], v[12:13]
	;; [unrolled: 1-line block ×4, first 2 shown]
	s_waitcnt vmcnt(4)
	v_add_f64 v[183:184], v[183:184], -v[221:222]
	v_mul_f64 v[221:222], v[187:188], s[12:13]
	s_waitcnt vmcnt(0)
	v_add_f64 v[136:137], v[136:137], -v[140:141]
	v_add_f64 v[140:141], v[217:218], v[2:3]
	s_clause 0x1
	buffer_load_dword v2, off, s[36:39], 0 offset:148
	buffer_load_dword v3, off, s[36:39], 0 offset:152
	v_add_f64 v[146:147], v[148:149], v[146:147]
	v_add_f64 v[122:123], v[183:184], v[122:123]
	;; [unrolled: 1-line block ×3, first 2 shown]
	v_mul_f64 v[221:222], v[179:180], s[12:13]
	v_add_f64 v[0:1], v[221:222], -v[0:1]
	v_mul_f64 v[221:222], v[187:188], s[4:5]
	v_add_f64 v[0:1], v[0:1], v[14:15]
	v_add_f64 v[14:15], v[211:212], v[8:9]
	;; [unrolled: 1-line block ×6, first 2 shown]
	s_waitcnt vmcnt(0)
	v_add_f64 v[144:145], v[18:19], v[2:3]
	s_clause 0x3
	buffer_load_dword v2, off, s[36:39], 0 offset:156
	buffer_load_dword v3, off, s[36:39], 0 offset:160
	;; [unrolled: 1-line block ×4, first 2 shown]
	v_add_f64 v[18:19], v[146:147], v[22:23]
	s_waitcnt vmcnt(2)
	v_add_f64 v[120:121], v[120:121], v[2:3]
	s_waitcnt vmcnt(0)
	v_add_f64 v[22:23], v[144:145], v[20:21]
	s_clause 0x1
	buffer_load_dword v20, off, s[36:39], 0 offset:116
	buffer_load_dword v21, off, s[36:39], 0 offset:120
	v_add_f64 v[2:3], v[4:5], v[16:17]
	v_add_f64 v[16:17], v[136:137], v[122:123]
	v_add_f64 v[4:5], v[223:224], v[142:143]
	s_waitcnt vmcnt(0)
	v_add_f64 v[20:21], v[120:121], v[20:21]
	ds_write_b128 v255, v[132:135] offset:14112
	ds_write_b128 v255, v[128:131] offset:16464
	;; [unrolled: 1-line block ×9, first 2 shown]
	ds_write_b128 v255, v[20:23]
	ds_write_b128 v255, v[112:115] offset:23520
.LBB0_11:
	s_or_b32 exec_lo, exec_lo, s1
	v_add_co_u32 v157, s1, 0x6000, v156
	v_add_co_ci_u32_e64 v158, s1, 0, v197, s1
	v_add_co_u32 v4, s1, 0x8000, v156
	v_add_co_ci_u32_e64 v5, s1, 0, v197, s1
	;; [unrolled: 2-line block ×5, first 2 shown]
	v_add_co_u32 v20, s1, 0xb000, v156
	s_waitcnt lgkmcnt(0)
	s_waitcnt_vscnt null, 0x0
	s_barrier
	buffer_gl0_inv
	s_clause 0x2
	global_load_dwordx4 v[0:3], v[157:158], off offset:1296
	global_load_dwordx4 v[4:7], v[4:5], off offset:1728
	;; [unrolled: 1-line block ×3, first 2 shown]
	v_add_co_ci_u32_e64 v21, s1, 0, v197, s1
	s_clause 0x2
	global_load_dwordx4 v[12:15], v[12:13], off offset:896
	global_load_dwordx4 v[16:19], v[16:17], off offset:1328
	;; [unrolled: 1-line block ×3, first 2 shown]
	ds_read_b128 v[120:123], v255
	ds_read_b128 v[136:139], v255 offset:8624
	ds_read_b128 v[140:143], v255 offset:17248
	ds_read_b128 v[144:147], v255 offset:3696
	ds_read_b128 v[148:151], v255 offset:12320
	ds_read_b128 v[152:155], v255 offset:20944
	s_waitcnt vmcnt(5) lgkmcnt(5)
	v_mul_f64 v[159:160], v[122:123], v[2:3]
	v_mul_f64 v[2:3], v[120:121], v[2:3]
	s_waitcnt vmcnt(4) lgkmcnt(4)
	v_mul_f64 v[161:162], v[138:139], v[6:7]
	v_mul_f64 v[6:7], v[136:137], v[6:7]
	;; [unrolled: 3-line block ×6, first 2 shown]
	v_fma_f64 v[120:121], v[120:121], v[0:1], -v[159:160]
	v_fma_f64 v[122:123], v[122:123], v[0:1], v[2:3]
	v_fma_f64 v[0:1], v[136:137], v[4:5], -v[161:162]
	v_fma_f64 v[2:3], v[138:139], v[4:5], v[6:7]
	;; [unrolled: 2-line block ×6, first 2 shown]
	ds_write_b128 v255, v[120:123]
	ds_write_b128 v255, v[0:3] offset:8624
	ds_write_b128 v255, v[4:7] offset:17248
	;; [unrolled: 1-line block ×5, first 2 shown]
	s_and_saveexec_b32 s2, vcc_lo
	s_cbranch_execz .LBB0_13
; %bb.12:
	v_add_co_u32 v2, s1, 0x6510, v156
	v_add_co_ci_u32_e64 v3, s1, 0, v197, s1
	v_add_co_u32 v0, s1, 0x1800, v2
	v_add_co_ci_u32_e64 v1, s1, 0, v3, s1
	;; [unrolled: 2-line block ×4, first 2 shown]
	s_clause 0x2
	global_load_dwordx4 v[0:3], v[0:1], off offset:1248
	global_load_dwordx4 v[4:7], v[4:5], off offset:1680
	;; [unrolled: 1-line block ×3, first 2 shown]
	ds_read_b128 v[12:15], v255 offset:7392
	ds_read_b128 v[16:19], v255 offset:16016
	;; [unrolled: 1-line block ×3, first 2 shown]
	s_waitcnt vmcnt(2) lgkmcnt(2)
	v_mul_f64 v[120:121], v[14:15], v[2:3]
	v_mul_f64 v[2:3], v[12:13], v[2:3]
	s_waitcnt vmcnt(1) lgkmcnt(1)
	v_mul_f64 v[122:123], v[18:19], v[6:7]
	v_mul_f64 v[6:7], v[16:17], v[6:7]
	;; [unrolled: 3-line block ×3, first 2 shown]
	v_fma_f64 v[10:11], v[12:13], v[0:1], -v[120:121]
	v_fma_f64 v[12:13], v[14:15], v[0:1], v[2:3]
	v_fma_f64 v[0:1], v[16:17], v[4:5], -v[122:123]
	v_fma_f64 v[2:3], v[18:19], v[4:5], v[6:7]
	v_fma_f64 v[4:5], v[20:21], v[8:9], -v[136:137]
	v_fma_f64 v[6:7], v[22:23], v[8:9], v[138:139]
	ds_write_b128 v255, v[10:13] offset:7392
	ds_write_b128 v255, v[0:3] offset:16016
	;; [unrolled: 1-line block ×3, first 2 shown]
.LBB0_13:
	s_or_b32 exec_lo, exec_lo, s2
	s_waitcnt lgkmcnt(0)
	s_barrier
	buffer_gl0_inv
	ds_read_b128 v[144:147], v255
	ds_read_b128 v[140:143], v255 offset:3696
	ds_read_b128 v[152:155], v255 offset:8624
	ds_read_b128 v[148:151], v255 offset:12320
	ds_read_b128 v[136:139], v255 offset:17248
	ds_read_b128 v[120:123], v255 offset:20944
	s_and_saveexec_b32 s1, vcc_lo
	s_cbranch_execz .LBB0_15
; %bb.14:
	ds_read_b128 v[132:135], v255 offset:7392
	ds_read_b128 v[128:131], v255 offset:16016
	;; [unrolled: 1-line block ×3, first 2 shown]
.LBB0_15:
	s_or_b32 exec_lo, exec_lo, s1
	s_waitcnt lgkmcnt(0)
	v_add_f64 v[4:5], v[148:149], v[120:121]
	v_add_f64 v[2:3], v[154:155], v[138:139]
	;; [unrolled: 1-line block ×6, first 2 shown]
	v_add_f64 v[150:151], v[150:151], -v[122:123]
	s_mov_b32 s2, 0xe8584caa
	s_mov_b32 s3, 0xbfebb67a
	;; [unrolled: 1-line block ×4, first 2 shown]
	s_barrier
	buffer_gl0_inv
	v_add_f64 v[0:1], v[152:153], v[136:137]
	v_add_f64 v[12:13], v[144:145], v[152:153]
	;; [unrolled: 1-line block ×4, first 2 shown]
	v_add_f64 v[14:15], v[154:155], -v[138:139]
	v_add_f64 v[159:160], v[128:129], -v[124:125]
	;; [unrolled: 1-line block ×3, first 2 shown]
	v_fma_f64 v[140:141], v[4:5], -0.5, v[140:141]
	v_fma_f64 v[146:147], v[2:3], -0.5, v[146:147]
	v_fma_f64 v[142:143], v[6:7], -0.5, v[142:143]
	v_add_f64 v[2:3], v[16:17], v[138:139]
	v_add_f64 v[4:5], v[18:19], v[120:121]
	;; [unrolled: 1-line block ×3, first 2 shown]
	v_fma_f64 v[22:23], v[0:1], -0.5, v[144:145]
	v_add_f64 v[144:145], v[152:153], -v[136:137]
	v_add_f64 v[0:1], v[12:13], v[136:137]
	v_fma_f64 v[154:155], v[8:9], -0.5, v[132:133]
	v_fma_f64 v[161:162], v[10:11], -0.5, v[134:135]
	v_add_f64 v[152:153], v[130:131], -v[126:127]
	v_fma_f64 v[16:17], v[150:151], s[2:3], v[140:141]
	v_fma_f64 v[20:21], v[150:151], s[4:5], v[140:141]
	buffer_load_dword v140, off, s[36:39], 0 offset:112 ; 4-byte Folded Reload
	v_fma_f64 v[18:19], v[148:149], s[4:5], v[142:143]
	v_fma_f64 v[8:9], v[14:15], s[2:3], v[22:23]
	;; [unrolled: 1-line block ×10, first 2 shown]
	s_waitcnt vmcnt(0)
	ds_write_b128 v140, v[0:3]
	ds_write_b128 v140, v[8:11] offset:16
	ds_write_b128 v140, v[12:15] offset:32
	buffer_load_dword v0, off, s[36:39], 0 offset:104 ; 4-byte Folded Reload
	s_waitcnt vmcnt(0)
	ds_write_b128 v0, v[4:7]
	ds_write_b128 v0, v[16:19] offset:16
	ds_write_b128 v0, v[20:23] offset:32
	s_and_saveexec_b32 s1, vcc_lo
	s_cbranch_execz .LBB0_17
; %bb.16:
	v_add_f64 v[0:1], v[134:135], v[130:131]
	v_add_f64 v[4:5], v[132:133], v[128:129]
	;; [unrolled: 1-line block ×4, first 2 shown]
	buffer_load_dword v4, off, s[36:39], 0 offset:108 ; 4-byte Folded Reload
	s_waitcnt vmcnt(0)
	v_lshlrev_b32_e32 v4, 4, v4
	ds_write_b128 v4, v[120:123] offset:16
	ds_write_b128 v4, v[0:3]
	ds_write_b128 v4, v[136:139] offset:32
.LBB0_17:
	s_or_b32 exec_lo, exec_lo, s1
	s_waitcnt lgkmcnt(0)
	s_barrier
	buffer_gl0_inv
	ds_read_b128 v[0:3], v255 offset:3696
	ds_read_b128 v[4:7], v255 offset:7392
	;; [unrolled: 1-line block ×6, first 2 shown]
	s_mov_b32 s4, 0x37e14327
	s_mov_b32 s16, 0xe976ee23
	;; [unrolled: 1-line block ×14, first 2 shown]
	s_waitcnt lgkmcnt(5)
	v_mul_f64 v[124:125], v[30:31], v[2:3]
	v_mul_f64 v[30:31], v[30:31], v[0:1]
	s_waitcnt lgkmcnt(4)
	v_mul_f64 v[126:127], v[26:27], v[6:7]
	v_mul_f64 v[26:27], v[26:27], v[4:5]
	;; [unrolled: 3-line block ×6, first 2 shown]
	s_mov_b32 s21, 0xbfe77f67
	s_mov_b32 s25, 0x3fd5d0dc
	;; [unrolled: 1-line block ×6, first 2 shown]
	v_fma_f64 v[0:1], v[28:29], v[0:1], v[124:125]
	v_fma_f64 v[2:3], v[28:29], v[2:3], -v[30:31]
	v_fma_f64 v[4:5], v[24:25], v[4:5], v[126:127]
	v_fma_f64 v[6:7], v[24:25], v[6:7], -v[26:27]
	;; [unrolled: 2-line block ×6, first 2 shown]
	v_add_f64 v[24:25], v[0:1], v[8:9]
	v_add_f64 v[26:27], v[2:3], v[10:11]
	;; [unrolled: 1-line block ×4, first 2 shown]
	v_add_f64 v[4:5], v[4:5], -v[12:13]
	v_add_f64 v[6:7], v[6:7], -v[14:15]
	v_add_f64 v[12:13], v[16:17], v[20:21]
	v_add_f64 v[14:15], v[18:19], v[22:23]
	v_add_f64 v[16:17], v[20:21], -v[16:17]
	v_add_f64 v[18:19], v[22:23], -v[18:19]
	;; [unrolled: 1-line block ×4, first 2 shown]
	ds_read_b128 v[0:3], v255
	s_waitcnt lgkmcnt(0)
	s_barrier
	buffer_gl0_inv
	v_add_f64 v[20:21], v[28:29], v[24:25]
	v_add_f64 v[22:23], v[30:31], v[26:27]
	v_add_f64 v[32:33], v[24:25], -v[12:13]
	v_add_f64 v[34:35], v[26:27], -v[14:15]
	;; [unrolled: 1-line block ×6, first 2 shown]
	v_add_f64 v[4:5], v[16:17], v[4:5]
	v_add_f64 v[6:7], v[18:19], v[6:7]
	v_add_f64 v[16:17], v[8:9], -v[16:17]
	v_add_f64 v[18:19], v[10:11], -v[18:19]
	;; [unrolled: 1-line block ×4, first 2 shown]
	v_add_f64 v[20:21], v[12:13], v[20:21]
	v_add_f64 v[22:23], v[14:15], v[22:23]
	v_add_f64 v[12:13], v[12:13], -v[28:29]
	v_add_f64 v[14:15], v[14:15], -v[30:31]
	v_mul_f64 v[32:33], v[32:33], s[4:5]
	v_mul_f64 v[34:35], v[34:35], s[4:5]
	;; [unrolled: 1-line block ×6, first 2 shown]
	v_add_f64 v[4:5], v[4:5], v[8:9]
	v_add_f64 v[6:7], v[6:7], v[10:11]
	;; [unrolled: 1-line block ×4, first 2 shown]
	v_mul_f64 v[28:29], v[12:13], s[2:3]
	v_mul_f64 v[30:31], v[14:15], s[2:3]
	v_fma_f64 v[8:9], v[12:13], s[2:3], v[32:33]
	v_fma_f64 v[10:11], v[14:15], s[2:3], v[34:35]
	;; [unrolled: 1-line block ×4, first 2 shown]
	v_fma_f64 v[16:17], v[16:17], s[24:25], -v[44:45]
	v_fma_f64 v[18:19], v[18:19], s[24:25], -v[46:47]
	;; [unrolled: 1-line block ×6, first 2 shown]
	v_fma_f64 v[20:21], v[20:21], s[14:15], v[0:1]
	v_fma_f64 v[22:23], v[22:23], s[14:15], v[2:3]
	v_fma_f64 v[24:25], v[24:25], s[18:19], -v[28:29]
	v_fma_f64 v[26:27], v[26:27], s[18:19], -v[30:31]
	v_fma_f64 v[28:29], v[4:5], s[26:27], v[12:13]
	v_fma_f64 v[30:31], v[6:7], s[26:27], v[14:15]
	;; [unrolled: 1-line block ×6, first 2 shown]
	v_add_f64 v[44:45], v[8:9], v[20:21]
	v_add_f64 v[46:47], v[10:11], v[22:23]
	;; [unrolled: 1-line block ×7, first 2 shown]
	v_add_f64 v[6:7], v[46:47], -v[28:29]
	v_add_f64 v[8:9], v[42:43], v[32:33]
	v_add_f64 v[10:11], v[34:35], -v[40:41]
	v_add_f64 v[12:13], v[16:17], -v[38:39]
	v_add_f64 v[14:15], v[36:37], v[18:19]
	v_add_f64 v[16:17], v[38:39], v[16:17]
	v_add_f64 v[18:19], v[18:19], -v[36:37]
	v_add_f64 v[20:21], v[32:33], -v[42:43]
	v_add_f64 v[22:23], v[40:41], v[34:35]
	v_add_f64 v[24:25], v[44:45], -v[30:31]
	v_add_f64 v[26:27], v[28:29], v[46:47]
	ds_write_b128 v198, v[0:3]
	ds_write_b128 v198, v[4:7] offset:48
	ds_write_b128 v198, v[8:11] offset:96
	;; [unrolled: 1-line block ×6, first 2 shown]
	s_waitcnt lgkmcnt(0)
	s_barrier
	buffer_gl0_inv
	ds_read_b128 v[0:3], v255 offset:3696
	ds_read_b128 v[4:7], v255 offset:7392
	;; [unrolled: 1-line block ×6, first 2 shown]
	s_waitcnt lgkmcnt(5)
	v_mul_f64 v[24:25], v[54:55], v[2:3]
	v_mul_f64 v[26:27], v[54:55], v[0:1]
	s_waitcnt lgkmcnt(4)
	v_mul_f64 v[28:29], v[50:51], v[6:7]
	v_mul_f64 v[30:31], v[50:51], v[4:5]
	;; [unrolled: 3-line block ×6, first 2 shown]
	v_fma_f64 v[0:1], v[52:53], v[0:1], v[24:25]
	v_fma_f64 v[2:3], v[52:53], v[2:3], -v[26:27]
	v_fma_f64 v[4:5], v[48:49], v[4:5], v[28:29]
	v_fma_f64 v[6:7], v[48:49], v[6:7], -v[30:31]
	;; [unrolled: 2-line block ×6, first 2 shown]
	v_add_f64 v[28:29], v[0:1], v[8:9]
	v_add_f64 v[30:31], v[2:3], v[10:11]
	;; [unrolled: 1-line block ×4, first 2 shown]
	v_add_f64 v[4:5], v[4:5], -v[12:13]
	v_add_f64 v[6:7], v[6:7], -v[14:15]
	v_add_f64 v[12:13], v[16:17], v[20:21]
	v_add_f64 v[14:15], v[18:19], v[22:23]
	v_add_f64 v[16:17], v[20:21], -v[16:17]
	v_add_f64 v[18:19], v[22:23], -v[18:19]
	;; [unrolled: 1-line block ×4, first 2 shown]
	v_add_f64 v[0:1], v[32:33], v[28:29]
	v_add_f64 v[2:3], v[34:35], v[30:31]
	v_add_f64 v[20:21], v[28:29], -v[12:13]
	v_add_f64 v[22:23], v[30:31], -v[14:15]
	;; [unrolled: 1-line block ×6, first 2 shown]
	v_add_f64 v[4:5], v[16:17], v[4:5]
	v_add_f64 v[6:7], v[18:19], v[6:7]
	v_add_f64 v[16:17], v[8:9], -v[16:17]
	v_add_f64 v[18:19], v[10:11], -v[18:19]
	v_add_f64 v[40:41], v[12:13], v[0:1]
	v_add_f64 v[42:43], v[14:15], v[2:3]
	v_add_f64 v[12:13], v[12:13], -v[32:33]
	v_add_f64 v[14:15], v[14:15], -v[34:35]
	ds_read_b128 v[0:3], v255
	v_mul_f64 v[20:21], v[20:21], s[4:5]
	v_mul_f64 v[22:23], v[22:23], s[4:5]
	;; [unrolled: 1-line block ×6, first 2 shown]
	v_add_f64 v[4:5], v[4:5], v[8:9]
	v_add_f64 v[6:7], v[6:7], v[10:11]
	s_waitcnt lgkmcnt(0)
	s_barrier
	buffer_gl0_inv
	v_add_f64 v[24:25], v[0:1], v[40:41]
	v_add_f64 v[26:27], v[2:3], v[42:43]
	v_add_f64 v[0:1], v[32:33], -v[28:29]
	v_add_f64 v[2:3], v[34:35], -v[30:31]
	v_mul_f64 v[28:29], v[12:13], s[2:3]
	v_mul_f64 v[30:31], v[14:15], s[2:3]
	v_fma_f64 v[8:9], v[12:13], s[2:3], v[20:21]
	v_fma_f64 v[10:11], v[14:15], s[2:3], v[22:23]
	;; [unrolled: 1-line block ×4, first 2 shown]
	v_fma_f64 v[32:33], v[36:37], s[12:13], -v[44:45]
	v_fma_f64 v[34:35], v[38:39], s[12:13], -v[46:47]
	v_fma_f64 v[16:17], v[16:17], s[24:25], -v[48:49]
	v_fma_f64 v[18:19], v[18:19], s[24:25], -v[50:51]
	v_fma_f64 v[36:37], v[40:41], s[14:15], v[24:25]
	v_fma_f64 v[38:39], v[42:43], s[14:15], v[26:27]
	v_fma_f64 v[20:21], v[0:1], s[20:21], -v[20:21]
	v_fma_f64 v[22:23], v[2:3], s[20:21], -v[22:23]
	;; [unrolled: 1-line block ×4, first 2 shown]
	v_fma_f64 v[12:13], v[4:5], s[26:27], v[12:13]
	v_fma_f64 v[14:15], v[6:7], s[26:27], v[14:15]
	;; [unrolled: 1-line block ×6, first 2 shown]
	v_add_f64 v[8:9], v[8:9], v[36:37]
	v_add_f64 v[10:11], v[10:11], v[38:39]
	;; [unrolled: 1-line block ×7, first 2 shown]
	v_add_f64 v[38:39], v[10:11], -v[12:13]
	v_add_f64 v[40:41], v[6:7], v[16:17]
	v_add_f64 v[42:43], v[18:19], -v[4:5]
	v_add_f64 v[28:29], v[0:1], -v[32:33]
	v_add_f64 v[30:31], v[44:45], v[2:3]
	v_add_f64 v[32:33], v[32:33], v[0:1]
	v_add_f64 v[34:35], v[2:3], -v[44:45]
	v_add_f64 v[44:45], v[16:17], -v[6:7]
	v_add_f64 v[46:47], v[4:5], v[18:19]
	v_add_f64 v[48:49], v[8:9], -v[14:15]
	v_add_f64 v[50:51], v[12:13], v[10:11]
	ds_write_b128 v201, v[24:27]
	ds_write_b128 v201, v[36:39] offset:336
	ds_write_b128 v201, v[40:43] offset:672
	;; [unrolled: 1-line block ×6, first 2 shown]
	s_waitcnt lgkmcnt(0)
	s_barrier
	buffer_gl0_inv
	s_and_saveexec_b32 s1, s0
	s_cbranch_execz .LBB0_19
; %bb.18:
	ds_read_b128 v[24:27], v255
	ds_read_b128 v[36:39], v255 offset:2352
	ds_read_b128 v[40:43], v255 offset:4704
	;; [unrolled: 1-line block ×10, first 2 shown]
.LBB0_19:
	s_or_b32 exec_lo, exec_lo, s1
	s_and_saveexec_b32 s33, s0
	s_cbranch_execz .LBB0_21
; %bb.20:
	s_waitcnt lgkmcnt(9)
	v_mul_f64 v[0:1], v[78:79], v[38:39]
	s_waitcnt lgkmcnt(0)
	v_mul_f64 v[2:3], v[82:83], v[114:115]
	v_mul_f64 v[4:5], v[78:79], v[36:37]
	;; [unrolled: 1-line block ×16, first 2 shown]
	s_mov_b32 s22, 0xfd768dbf
	s_mov_b32 s23, 0xbfd207e7
	v_mul_f64 v[18:19], v[106:107], v[122:123]
	s_mov_b32 s14, 0xbb3a28a1
	s_mov_b32 s12, 0xf8bb580b
	v_fma_f64 v[0:1], v[76:77], v[36:37], v[0:1]
	v_fma_f64 v[36:37], v[80:81], v[112:113], v[2:3]
	v_fma_f64 v[2:3], v[76:77], v[38:39], -v[4:5]
	v_fma_f64 v[38:39], v[80:81], v[114:115], -v[6:7]
	v_mul_f64 v[4:5], v[86:87], v[32:33]
	v_fma_f64 v[20:21], v[72:73], v[40:41], v[20:21]
	v_fma_f64 v[40:41], v[96:97], v[116:117], v[22:23]
	v_fma_f64 v[22:23], v[72:73], v[42:43], -v[52:53]
	v_fma_f64 v[42:43], v[96:97], v[118:119], -v[54:55]
	v_mul_f64 v[6:7], v[106:107], v[120:121]
	v_fma_f64 v[8:9], v[100:101], v[44:45], v[8:9]
	v_fma_f64 v[10:11], v[108:109], v[48:49], v[10:11]
	v_fma_f64 v[12:13], v[100:101], v[46:47], -v[12:13]
	v_fma_f64 v[14:15], v[108:109], v[50:51], -v[14:15]
	v_fma_f64 v[16:17], v[84:85], v[32:33], v[16:17]
	v_fma_f64 v[32:33], v[92:93], v[28:29], v[56:57]
	;; [unrolled: 1-line block ×3, first 2 shown]
	s_mov_b32 s18, 0x9bcd5057
	s_mov_b32 s15, 0xbfe82f19
	;; [unrolled: 1-line block ×4, first 2 shown]
	v_fma_f64 v[18:19], v[104:105], v[120:121], v[18:19]
	s_mov_b32 s16, 0x43842ef
	v_add_f64 v[52:53], v[0:1], -v[36:37]
	v_add_f64 v[50:51], v[0:1], v[36:37]
	v_add_f64 v[54:55], v[2:3], -v[38:39]
	v_fma_f64 v[4:5], v[84:85], v[34:35], -v[4:5]
	v_fma_f64 v[34:35], v[92:93], v[30:31], -v[60:61]
	;; [unrolled: 1-line block ×3, first 2 shown]
	v_add_f64 v[44:45], v[20:21], -v[40:41]
	v_add_f64 v[46:47], v[22:23], -v[42:43]
	v_add_f64 v[48:49], v[2:3], v[38:39]
	v_fma_f64 v[6:7], v[104:105], v[122:123], -v[6:7]
	v_add_f64 v[66:67], v[22:23], v[42:43]
	v_add_f64 v[74:75], v[20:21], v[40:41]
	s_mov_b32 s2, 0x7f775887
	s_mov_b32 s4, 0x8764f0ba
	;; [unrolled: 1-line block ×3, first 2 shown]
	v_add_f64 v[64:65], v[32:33], -v[28:29]
	s_mov_b32 s3, 0xbfe4f49e
	s_mov_b32 s5, 0x3feaeb8c
	;; [unrolled: 1-line block ×4, first 2 shown]
	v_add_f64 v[62:63], v[16:17], -v[18:19]
	v_add_f64 v[94:95], v[32:33], v[28:29]
	v_mul_f64 v[56:57], v[52:53], s[22:23]
	v_mul_f64 v[96:97], v[52:53], s[14:15]
	;; [unrolled: 1-line block ×5, first 2 shown]
	v_add_f64 v[72:73], v[34:35], -v[30:31]
	v_mul_f64 v[76:77], v[44:45], s[12:13]
	v_mul_f64 v[78:79], v[46:47], s[12:13]
	v_add_f64 v[88:89], v[34:35], v[30:31]
	v_add_f64 v[70:71], v[4:5], -v[6:7]
	v_mul_f64 v[124:125], v[44:45], s[26:27]
	v_mul_f64 v[134:135], v[54:55], s[16:17]
	s_mov_b32 s0, 0x640f44db
	s_mov_b32 s1, 0xbfc2375f
	;; [unrolled: 1-line block ×3, first 2 shown]
	v_mul_f64 v[102:103], v[64:65], s[14:15]
	s_mov_b32 s24, 0x8eee2c13
	s_mov_b32 s29, 0xbfe14ced
	s_mov_b32 s31, 0x3fd207e7
	s_mov_b32 s28, s12
	s_mov_b32 s30, s22
	v_add_f64 v[2:3], v[26:27], v[2:3]
	v_fma_f64 v[84:85], v[48:49], s[18:19], v[56:57]
	v_fma_f64 v[56:57], v[48:49], s[18:19], -v[56:57]
	v_fma_f64 v[86:87], v[50:51], s[18:19], -v[58:59]
	v_fma_f64 v[58:59], v[50:51], s[18:19], v[58:59]
	v_fma_f64 v[126:127], v[48:49], s[2:3], v[96:97]
	v_mul_f64 v[110:111], v[72:73], s[14:15]
	v_fma_f64 v[112:113], v[66:67], s[4:5], v[76:77]
	v_fma_f64 v[114:115], v[74:75], s[4:5], -v[78:79]
	v_fma_f64 v[76:77], v[66:67], s[4:5], -v[76:77]
	v_fma_f64 v[78:79], v[74:75], s[4:5], v[78:79]
	v_add_f64 v[0:1], v[24:25], v[0:1]
	v_add_f64 v[82:83], v[4:5], v[6:7]
	;; [unrolled: 1-line block ×3, first 2 shown]
	v_mul_f64 v[100:101], v[62:63], s[24:25]
	v_mul_f64 v[106:107], v[70:71], s[24:25]
	;; [unrolled: 1-line block ×4, first 2 shown]
	v_fma_f64 v[138:139], v[88:89], s[2:3], v[102:103]
	v_fma_f64 v[140:141], v[50:51], s[2:3], -v[108:109]
	v_fma_f64 v[102:103], v[88:89], s[2:3], -v[102:103]
	;; [unrolled: 1-line block ×3, first 2 shown]
	v_fma_f64 v[108:109], v[50:51], s[2:3], v[108:109]
	v_add_f64 v[84:85], v[26:27], v[84:85]
	v_add_f64 v[56:57], v[26:27], v[56:57]
	;; [unrolled: 1-line block ×4, first 2 shown]
	v_fma_f64 v[144:145], v[66:67], s[0:1], v[124:125]
	v_fma_f64 v[142:143], v[94:95], s[2:3], -v[110:111]
	v_fma_f64 v[110:111], v[94:95], s[2:3], v[110:111]
	v_add_f64 v[126:127], v[26:27], v[126:127]
	v_fma_f64 v[148:149], v[50:51], s[0:1], -v[134:135]
	s_mov_b32 s20, 0xd9c712b6
	s_mov_b32 s21, 0x3fda9628
	v_add_f64 v[2:3], v[2:3], v[22:23]
	v_add_f64 v[0:1], v[0:1], v[20:21]
	v_mul_f64 v[118:119], v[62:63], s[22:23]
	v_mul_f64 v[130:131], v[72:73], s[28:29]
	v_mul_f64 v[136:137], v[64:65], s[24:25]
	v_fma_f64 v[22:23], v[82:83], s[20:21], v[100:101]
	v_fma_f64 v[146:147], v[92:93], s[20:21], -v[106:107]
	v_fma_f64 v[100:101], v[82:83], s[20:21], -v[100:101]
	;; [unrolled: 1-line block ×3, first 2 shown]
	v_fma_f64 v[106:107], v[92:93], s[20:21], v[106:107]
	v_fma_f64 v[124:125], v[66:67], s[0:1], -v[124:125]
	v_add_f64 v[84:85], v[112:113], v[84:85]
	v_add_f64 v[56:57], v[76:77], v[56:57]
	;; [unrolled: 1-line block ×4, first 2 shown]
	v_mul_f64 v[76:77], v[44:45], s[30:31]
	v_mul_f64 v[112:113], v[46:47], s[30:31]
	v_fma_f64 v[114:115], v[48:49], s[0:1], v[122:123]
	v_mul_f64 v[78:79], v[72:73], s[24:25]
	v_fma_f64 v[132:133], v[74:75], s[0:1], v[132:133]
	v_add_f64 v[96:97], v[26:27], v[96:97]
	v_add_f64 v[108:109], v[24:25], v[108:109]
	;; [unrolled: 1-line block ×4, first 2 shown]
	v_add_f64 v[60:61], v[8:9], -v[10:11]
	v_add_f64 v[68:69], v[12:13], -v[14:15]
	v_add_f64 v[2:3], v[2:3], v[34:35]
	v_add_f64 v[0:1], v[0:1], v[32:33]
	v_mul_f64 v[128:129], v[70:71], s[22:23]
	v_add_f64 v[140:141], v[24:25], v[140:141]
	v_fma_f64 v[148:149], v[94:95], s[4:5], -v[130:131]
	v_fma_f64 v[130:131], v[94:95], s[4:5], v[130:131]
	v_fma_f64 v[122:123], v[48:49], s[0:1], -v[122:123]
	v_add_f64 v[84:85], v[138:139], v[84:85]
	v_add_f64 v[56:57], v[102:103], v[56:57]
	;; [unrolled: 1-line block ×4, first 2 shown]
	v_fma_f64 v[102:103], v[66:67], s[18:19], v[76:77]
	v_fma_f64 v[142:143], v[74:75], s[18:19], -v[112:113]
	v_add_f64 v[110:111], v[26:27], v[114:115]
	v_fma_f64 v[114:115], v[88:89], s[4:5], v[120:121]
	v_fma_f64 v[120:121], v[88:89], s[4:5], -v[120:121]
	v_add_f64 v[96:97], v[124:125], v[96:97]
	v_add_f64 v[108:109], v[132:133], v[108:109]
	v_fma_f64 v[132:133], v[94:95], s[20:21], -v[78:79]
	v_fma_f64 v[32:33], v[82:83], s[18:19], -v[118:119]
	v_mul_f64 v[116:117], v[60:61], s[24:25]
	v_fma_f64 v[76:77], v[66:67], s[18:19], -v[76:77]
	v_add_f64 v[2:3], v[2:3], v[4:5]
	v_add_f64 v[0:1], v[0:1], v[16:17]
	v_fma_f64 v[112:113], v[74:75], s[18:19], v[112:113]
	v_add_f64 v[140:141], v[150:151], v[140:141]
	v_mul_f64 v[4:5], v[54:55], s[28:29]
	v_add_f64 v[80:81], v[12:13], v[14:15]
	v_add_f64 v[90:91], v[8:9], v[10:11]
	;; [unrolled: 1-line block ×6, first 2 shown]
	v_mul_f64 v[86:87], v[62:63], s[28:29]
	v_fma_f64 v[100:101], v[50:51], s[0:1], v[134:135]
	v_fma_f64 v[106:107], v[88:89], s[20:21], v[136:137]
	v_add_f64 v[102:103], v[102:103], v[110:111]
	v_fma_f64 v[110:111], v[82:83], s[18:19], v[118:119]
	v_add_f64 v[114:115], v[114:115], v[126:127]
	v_mul_f64 v[126:127], v[70:71], s[28:29]
	v_add_f64 v[134:135], v[142:143], v[144:145]
	v_mul_f64 v[142:143], v[68:69], s[24:25]
	s_mov_b32 s25, 0xbfed1bb4
	v_fma_f64 v[144:145], v[92:93], s[18:19], -v[128:129]
	v_add_f64 v[34:35], v[120:121], v[96:97]
	v_fma_f64 v[96:97], v[92:93], s[18:19], v[128:129]
	v_add_f64 v[118:119], v[26:27], v[122:123]
	v_add_f64 v[108:109], v[130:131], v[108:109]
	v_mul_f64 v[16:17], v[54:55], s[24:25]
	v_add_f64 v[2:3], v[2:3], v[12:13]
	v_add_f64 v[0:1], v[0:1], v[8:9]
	;; [unrolled: 1-line block ×3, first 2 shown]
	v_fma_f64 v[78:79], v[94:95], s[20:21], v[78:79]
	v_fma_f64 v[8:9], v[50:51], s[4:5], v[4:5]
	;; [unrolled: 1-line block ×4, first 2 shown]
	v_add_f64 v[100:101], v[24:25], v[100:101]
	v_fma_f64 v[54:55], v[80:81], s[20:21], -v[116:117]
	v_add_f64 v[102:103], v[106:107], v[102:103]
	v_fma_f64 v[116:117], v[88:89], s[20:21], -v[136:137]
	v_add_f64 v[106:107], v[110:111], v[114:115]
	v_mul_f64 v[110:111], v[52:53], s[24:25]
	v_fma_f64 v[128:129], v[92:93], s[4:5], -v[126:127]
	v_add_f64 v[130:131], v[132:133], v[134:135]
	v_mul_f64 v[52:53], v[52:53], s[28:29]
	v_fma_f64 v[4:5], v[50:51], s[4:5], -v[4:5]
	v_fma_f64 v[132:133], v[90:91], s[20:21], -v[142:143]
	v_add_f64 v[32:33], v[32:33], v[34:35]
	v_add_f64 v[76:77], v[76:77], v[118:119]
	v_fma_f64 v[34:35], v[90:91], s[20:21], v[142:143]
	v_fma_f64 v[12:13], v[50:51], s[20:21], v[16:17]
	v_fma_f64 v[16:17], v[50:51], s[20:21], -v[16:17]
	v_add_f64 v[2:3], v[2:3], v[14:15]
	v_add_f64 v[0:1], v[0:1], v[10:11]
	;; [unrolled: 1-line block ×3, first 2 shown]
	v_mul_f64 v[50:51], v[64:65], s[30:31]
	v_mul_f64 v[64:65], v[64:65], s[16:17]
	v_add_f64 v[8:9], v[24:25], v[8:9]
	v_add_f64 v[100:101], v[112:113], v[100:101]
	v_mul_f64 v[112:113], v[44:45], s[14:15]
	v_add_f64 v[102:103], v[122:123], v[102:103]
	v_mul_f64 v[122:123], v[46:47], s[14:15]
	v_mul_f64 v[44:45], v[44:45], s[24:25]
	v_fma_f64 v[118:119], v[48:49], s[20:21], -v[110:111]
	v_mul_f64 v[46:47], v[46:47], s[24:25]
	v_add_f64 v[128:129], v[128:129], v[130:131]
	v_fma_f64 v[130:131], v[48:49], s[4:5], -v[52:53]
	v_fma_f64 v[110:111], v[48:49], s[20:21], v[110:111]
	v_fma_f64 v[48:49], v[48:49], s[4:5], v[52:53]
	v_add_f64 v[4:5], v[24:25], v[4:5]
	v_add_f64 v[76:77], v[116:117], v[76:77]
	v_fma_f64 v[116:117], v[92:93], s[4:5], v[126:127]
	v_add_f64 v[10:11], v[24:25], v[12:13]
	v_add_f64 v[16:17], v[24:25], v[16:17]
	;; [unrolled: 1-line block ×4, first 2 shown]
	v_mul_f64 v[24:25], v[62:63], s[26:27]
	v_mul_f64 v[62:63], v[62:63], s[14:15]
	v_fma_f64 v[18:19], v[88:89], s[0:1], v[64:65]
	v_mul_f64 v[120:121], v[60:61], s[14:15]
	v_add_f64 v[52:53], v[78:79], v[100:101]
	v_mul_f64 v[78:79], v[72:73], s[30:31]
	v_fma_f64 v[100:101], v[66:67], s[2:3], -v[112:113]
	v_mul_f64 v[72:73], v[72:73], s[16:17]
	v_fma_f64 v[140:141], v[66:67], s[20:21], -v[44:45]
	v_add_f64 v[118:119], v[26:27], v[118:119]
	v_fma_f64 v[142:143], v[74:75], s[20:21], v[46:47]
	v_fma_f64 v[126:127], v[74:75], s[2:3], v[122:123]
	v_add_f64 v[130:131], v[26:27], v[130:131]
	v_fma_f64 v[12:13], v[66:67], s[2:3], v[112:113]
	v_add_f64 v[14:15], v[26:27], v[110:111]
	v_fma_f64 v[110:111], v[74:75], s[2:3], -v[122:123]
	v_fma_f64 v[44:45], v[66:67], s[20:21], v[44:45]
	v_add_f64 v[26:27], v[26:27], v[48:49]
	v_fma_f64 v[46:47], v[74:75], s[20:21], -v[46:47]
	v_mul_f64 v[48:49], v[70:71], s[26:27]
	v_fma_f64 v[66:67], v[88:89], s[18:19], -v[50:51]
	v_mul_f64 v[70:71], v[70:71], s[14:15]
	v_fma_f64 v[112:113], v[88:89], s[0:1], -v[64:65]
	v_fma_f64 v[86:87], v[82:83], s[4:5], -v[86:87]
	v_add_f64 v[2:3], v[2:3], v[30:31]
	v_add_f64 v[0:1], v[0:1], v[28:29]
	v_mul_f64 v[98:99], v[60:61], s[16:17]
	v_mul_f64 v[104:105], v[68:69], s[16:17]
	;; [unrolled: 1-line block ×3, first 2 shown]
	v_fma_f64 v[122:123], v[94:95], s[0:1], v[72:73]
	v_fma_f64 v[64:65], v[82:83], s[0:1], -v[24:25]
	v_add_f64 v[74:75], v[100:101], v[118:119]
	v_add_f64 v[6:7], v[142:143], v[8:9]
	v_fma_f64 v[100:101], v[94:95], s[18:19], v[78:79]
	v_add_f64 v[118:119], v[140:141], v[130:131]
	v_add_f64 v[8:9], v[126:127], v[10:11]
	v_fma_f64 v[10:11], v[88:89], s[18:19], v[50:51]
	v_add_f64 v[12:13], v[12:13], v[14:15]
	v_fma_f64 v[14:15], v[94:95], s[18:19], -v[78:79]
	v_add_f64 v[16:17], v[110:111], v[16:17]
	v_add_f64 v[26:27], v[44:45], v[26:27]
	v_fma_f64 v[44:45], v[94:95], s[0:1], -v[72:73]
	v_add_f64 v[4:5], v[46:47], v[4:5]
	v_mul_f64 v[46:47], v[60:61], s[12:13]
	v_mul_f64 v[50:51], v[68:69], s[12:13]
	;; [unrolled: 1-line block ×4, first 2 shown]
	v_fma_f64 v[88:89], v[92:93], s[2:3], v[70:71]
	v_fma_f64 v[72:73], v[92:93], s[0:1], v[48:49]
	;; [unrolled: 1-line block ×3, first 2 shown]
	v_fma_f64 v[28:29], v[80:81], s[2:3], -v[120:121]
	v_add_f64 v[30:31], v[86:87], v[76:77]
	v_add_f64 v[42:43], v[2:3], v[42:43]
	;; [unrolled: 1-line block ×3, first 2 shown]
	v_fma_f64 v[74:75], v[82:83], s[2:3], -v[62:63]
	v_add_f64 v[6:7], v[122:123], v[6:7]
	v_add_f64 v[78:79], v[112:113], v[118:119]
	;; [unrolled: 1-line block ×5, first 2 shown]
	v_fma_f64 v[12:13], v[92:93], s[0:1], -v[48:49]
	v_add_f64 v[14:15], v[14:15], v[16:17]
	v_fma_f64 v[16:17], v[82:83], s[2:3], v[62:63]
	v_add_f64 v[18:19], v[18:19], v[26:27]
	v_fma_f64 v[26:27], v[92:93], s[2:3], -v[70:71]
	v_add_f64 v[4:5], v[44:45], v[4:5]
	v_fma_f64 v[20:21], v[80:81], s[0:1], v[98:99]
	v_add_f64 v[48:49], v[116:117], v[52:53]
	v_fma_f64 v[52:53], v[80:81], s[4:5], -v[46:47]
	v_fma_f64 v[44:45], v[90:91], s[2:3], v[114:115]
	v_add_f64 v[96:97], v[96:97], v[108:109]
	v_fma_f64 v[138:139], v[90:91], s[0:1], -v[104:105]
	v_fma_f64 v[98:99], v[80:81], s[0:1], -v[98:99]
	v_fma_f64 v[104:105], v[90:91], s[0:1], v[104:105]
	v_fma_f64 v[108:109], v[80:81], s[2:3], v[120:121]
	v_add_f64 v[62:63], v[64:65], v[66:67]
	v_fma_f64 v[66:67], v[80:81], s[18:19], -v[60:61]
	v_add_f64 v[76:77], v[88:89], v[6:7]
	v_add_f64 v[70:71], v[74:75], v[78:79]
	v_fma_f64 v[74:75], v[90:91], s[18:19], v[68:69]
	v_fma_f64 v[64:65], v[90:91], s[4:5], v[50:51]
	v_add_f64 v[72:73], v[72:73], v[8:9]
	v_fma_f64 v[136:137], v[90:91], s[2:3], -v[114:115]
	v_fma_f64 v[46:47], v[80:81], s[4:5], v[46:47]
	v_add_f64 v[78:79], v[24:25], v[10:11]
	v_fma_f64 v[50:51], v[90:91], s[4:5], -v[50:51]
	v_add_f64 v[82:83], v[12:13], v[14:15]
	v_fma_f64 v[60:61], v[80:81], s[18:19], v[60:61]
	v_add_f64 v[80:81], v[16:17], v[18:19]
	v_fma_f64 v[68:69], v[90:91], s[18:19], -v[68:69]
	v_add_f64 v[86:87], v[26:27], v[4:5]
	v_add_f64 v[18:19], v[28:29], v[30:31]
	v_add_f64 v[30:31], v[42:43], v[38:39]
	v_add_f64 v[28:29], v[40:41], v[36:37]
	v_add_f64 v[2:3], v[20:21], v[22:23]
	v_add_f64 v[16:17], v[44:45], v[48:49]
	v_add_f64 v[14:15], v[54:55], v[32:33]
	v_add_f64 v[22:23], v[52:53], v[62:63]
	v_add_f64 v[12:13], v[34:35], v[96:97]
	v_add_f64 v[6:7], v[98:99], v[56:57]
	v_add_f64 v[26:27], v[66:67], v[70:71]
	v_add_f64 v[24:25], v[74:75], v[76:77]
	v_add_f64 v[4:5], v[104:105], v[58:59]
	v_add_f64 v[20:21], v[64:65], v[72:73]
	v_add_f64 v[0:1], v[138:139], v[84:85]
	v_add_f64 v[10:11], v[124:125], v[106:107]
	v_add_f64 v[8:9], v[132:133], v[134:135]
	v_add_f64 v[34:35], v[108:109], v[102:103]
	v_add_f64 v[32:33], v[136:137], v[128:129]
	v_add_f64 v[38:39], v[46:47], v[78:79]
	v_add_f64 v[36:37], v[50:51], v[82:83]
	v_add_f64 v[42:43], v[60:61], v[80:81]
	v_add_f64 v[40:41], v[68:69], v[86:87]
	ds_write_b128 v255, v[28:31]
	ds_write_b128 v255, v[24:27] offset:2352
	ds_write_b128 v255, v[20:23] offset:4704
	;; [unrolled: 1-line block ×10, first 2 shown]
.LBB0_21:
	s_or_b32 exec_lo, exec_lo, s33
	s_waitcnt lgkmcnt(0)
	s_barrier
	buffer_gl0_inv
	ds_read_b128 v[0:3], v255
	ds_read_b128 v[4:7], v255 offset:8624
	ds_read_b128 v[8:11], v255 offset:17248
	;; [unrolled: 1-line block ×3, first 2 shown]
	s_clause 0x1
	buffer_load_dword v16, off, s[36:39], 0
	buffer_load_dword v17, off, s[36:39], 0 offset:4
	v_mad_u64_u32 v[26:27], null, s8, v202, 0
	s_mul_i32 s0, s9, 0x21b
	s_mul_hi_u32 s1, s8, 0x21b
	s_mul_i32 s4, s8, 0x21b
	s_add_i32 s5, s1, s0
	s_mov_b32 s2, 0x929a339d
	s_mov_b32 s3, 0x3f4443c2
	s_lshl_b64 s[4:5], s[4:5], 4
	s_mul_i32 s1, s9, 0xfffffcb1
	ds_read_b128 v[20:23], v255 offset:20944
	s_waitcnt vmcnt(1)
	v_mov_b32_e32 v42, v16
	s_waitcnt vmcnt(0)
	ds_read_b128 v[16:19], v255 offset:12320
	s_clause 0xb
	buffer_load_dword v54, off, s[36:39], 0 offset:8
	buffer_load_dword v55, off, s[36:39], 0 offset:12
	;; [unrolled: 1-line block ×12, first 2 shown]
	v_mad_u64_u32 v[24:25], null, s10, v42, 0
	v_mad_u64_u32 v[42:43], null, s11, v42, v[25:26]
	v_mov_b32_e32 v25, v42
	v_lshlrev_b64 v[24:25], 4, v[24:25]
	v_add_co_u32 v24, s0, s6, v24
	v_add_co_ci_u32_e64 v25, s0, s7, v25, s0
	s_mul_i32 s6, s8, 0xfffffcb1
	s_waitcnt vmcnt(8) lgkmcnt(5)
	v_mul_f64 v[28:29], v[56:57], v[2:3]
	v_mul_f64 v[30:31], v[56:57], v[0:1]
	s_waitcnt vmcnt(4) lgkmcnt(4)
	v_mul_f64 v[32:33], v[66:67], v[6:7]
	v_mul_f64 v[34:35], v[66:67], v[4:5]
	s_clause 0x7
	buffer_load_dword v56, off, s[36:39], 0 offset:24
	buffer_load_dword v57, off, s[36:39], 0 offset:28
	;; [unrolled: 1-line block ×8, first 2 shown]
	s_waitcnt vmcnt(8) lgkmcnt(3)
	v_mul_f64 v[36:37], v[62:63], v[10:11]
	v_mul_f64 v[38:39], v[62:63], v[8:9]
	v_mad_u64_u32 v[43:44], null, s9, v202, v[27:28]
	v_fma_f64 v[0:1], v[54:55], v[0:1], v[28:29]
	v_fma_f64 v[2:3], v[54:55], v[2:3], -v[30:31]
	v_fma_f64 v[4:5], v[64:65], v[4:5], v[32:33]
	v_fma_f64 v[6:7], v[64:65], v[6:7], -v[34:35]
	;; [unrolled: 2-line block ×3, first 2 shown]
	v_mov_b32_e32 v27, v43
	v_lshlrev_b64 v[26:27], 4, v[26:27]
	v_add_co_u32 v24, s0, v24, v26
	v_add_co_ci_u32_e64 v25, s0, v25, v27, s0
	v_mul_f64 v[0:1], v[0:1], s[2:3]
	v_mul_f64 v[2:3], v[2:3], s[2:3]
	v_add_co_u32 v26, s0, v24, s4
	v_add_co_ci_u32_e64 v27, s0, s5, v25, s0
	s_mul_hi_u32 s0, s8, 0xfffffcb1
	v_mul_f64 v[4:5], v[4:5], s[2:3]
	s_sub_i32 s0, s0, s8
	v_mul_f64 v[6:7], v[6:7], s[2:3]
	s_add_i32 s7, s0, s1
	v_add_co_u32 v28, s0, v26, s4
	v_mul_f64 v[8:9], v[8:9], s[2:3]
	v_mul_f64 v[10:11], v[10:11], s[2:3]
	v_add_co_ci_u32_e64 v29, s0, s5, v27, s0
	s_lshl_b64 s[6:7], s[6:7], 4
	v_add_co_u32 v30, s0, v28, s6
	v_add_co_ci_u32_e64 v31, s0, s7, v29, s0
	v_add_co_u32 v32, s0, v30, s4
	v_add_co_ci_u32_e64 v33, s0, s5, v31, s0
	s_waitcnt vmcnt(4) lgkmcnt(2)
	v_mul_f64 v[40:41], v[58:59], v[14:15]
	s_waitcnt vmcnt(0) lgkmcnt(0)
	v_mul_f64 v[46:47], v[68:69], v[18:19]
	v_mul_f64 v[48:49], v[68:69], v[16:17]
	s_clause 0x3
	buffer_load_dword v68, off, s[36:39], 0 offset:88
	buffer_load_dword v69, off, s[36:39], 0 offset:92
	;; [unrolled: 1-line block ×4, first 2 shown]
	v_mul_f64 v[44:45], v[58:59], v[12:13]
	global_store_dwordx4 v[24:25], v[0:3], off
	v_add_co_u32 v0, s0, v32, s4
	v_add_co_ci_u32_e64 v1, s0, s5, v33, s0
	v_fma_f64 v[12:13], v[56:57], v[12:13], v[40:41]
	v_fma_f64 v[16:17], v[66:67], v[16:17], v[46:47]
	v_fma_f64 v[18:19], v[66:67], v[18:19], -v[48:49]
	v_fma_f64 v[14:15], v[56:57], v[14:15], -v[44:45]
	v_mul_f64 v[12:13], v[12:13], s[2:3]
	v_mul_f64 v[16:17], v[16:17], s[2:3]
	;; [unrolled: 1-line block ×4, first 2 shown]
	s_waitcnt vmcnt(0)
	v_mul_f64 v[50:51], v[70:71], v[22:23]
	v_mul_f64 v[52:53], v[70:71], v[20:21]
	v_fma_f64 v[20:21], v[68:69], v[20:21], v[50:51]
	v_fma_f64 v[22:23], v[68:69], v[22:23], -v[52:53]
	v_mul_f64 v[20:21], v[20:21], s[2:3]
	v_mul_f64 v[22:23], v[22:23], s[2:3]
	global_store_dwordx4 v[26:27], v[4:7], off
	global_store_dwordx4 v[28:29], v[8:11], off
	;; [unrolled: 1-line block ×5, first 2 shown]
	s_and_b32 exec_lo, exec_lo, vcc_lo
	s_cbranch_execz .LBB0_23
; %bb.22:
	v_add_co_u32 v6, vcc_lo, 0x1800, v156
	v_add_co_ci_u32_e32 v7, vcc_lo, 0, v197, vcc_lo
	v_add_co_u32 v10, vcc_lo, 0x3800, v156
	v_add_co_ci_u32_e32 v11, vcc_lo, 0, v197, vcc_lo
	s_clause 0x2
	global_load_dwordx4 v[2:5], v[157:158], off offset:64
	global_load_dwordx4 v[6:9], v[6:7], off offset:1248
	;; [unrolled: 1-line block ×3, first 2 shown]
	ds_read_b128 v[14:17], v255 offset:24640
	ds_read_b128 v[18:21], v255 offset:7392
	;; [unrolled: 1-line block ×3, first 2 shown]
	v_add_co_u32 v0, vcc_lo, v0, s6
	v_add_co_ci_u32_e32 v1, vcc_lo, s7, v1, vcc_lo
	s_waitcnt vmcnt(2) lgkmcnt(2)
	v_mul_f64 v[26:27], v[16:17], v[4:5]
	s_waitcnt vmcnt(1) lgkmcnt(1)
	v_mul_f64 v[28:29], v[20:21], v[8:9]
	v_mul_f64 v[8:9], v[18:19], v[8:9]
	s_waitcnt vmcnt(0) lgkmcnt(0)
	v_mul_f64 v[30:31], v[24:25], v[12:13]
	v_mul_f64 v[12:13], v[22:23], v[12:13]
	;; [unrolled: 1-line block ×3, first 2 shown]
	v_fma_f64 v[14:15], v[14:15], v[2:3], v[26:27]
	v_fma_f64 v[18:19], v[18:19], v[6:7], v[28:29]
	v_fma_f64 v[8:9], v[6:7], v[20:21], -v[8:9]
	v_fma_f64 v[20:21], v[22:23], v[10:11], v[30:31]
	v_fma_f64 v[12:13], v[10:11], v[24:25], -v[12:13]
	v_fma_f64 v[4:5], v[2:3], v[16:17], -v[4:5]
	v_mul_f64 v[2:3], v[14:15], s[2:3]
	v_mul_f64 v[6:7], v[18:19], s[2:3]
	;; [unrolled: 1-line block ×6, first 2 shown]
	v_add_co_u32 v14, vcc_lo, v0, s4
	v_add_co_ci_u32_e32 v15, vcc_lo, s5, v1, vcc_lo
	v_add_co_u32 v16, vcc_lo, v14, s4
	v_add_co_ci_u32_e32 v17, vcc_lo, s5, v15, vcc_lo
	global_store_dwordx4 v[0:1], v[6:9], off
	global_store_dwordx4 v[14:15], v[10:13], off
	;; [unrolled: 1-line block ×3, first 2 shown]
.LBB0_23:
	s_endpgm
	.section	.rodata,"a",@progbits
	.p2align	6, 0x0
	.amdhsa_kernel bluestein_single_back_len1617_dim1_dp_op_CI_CI
		.amdhsa_group_segment_fixed_size 25872
		.amdhsa_private_segment_fixed_size 240
		.amdhsa_kernarg_size 104
		.amdhsa_user_sgpr_count 6
		.amdhsa_user_sgpr_private_segment_buffer 1
		.amdhsa_user_sgpr_dispatch_ptr 0
		.amdhsa_user_sgpr_queue_ptr 0
		.amdhsa_user_sgpr_kernarg_segment_ptr 1
		.amdhsa_user_sgpr_dispatch_id 0
		.amdhsa_user_sgpr_flat_scratch_init 0
		.amdhsa_user_sgpr_private_segment_size 0
		.amdhsa_wavefront_size32 1
		.amdhsa_uses_dynamic_stack 0
		.amdhsa_system_sgpr_private_segment_wavefront_offset 1
		.amdhsa_system_sgpr_workgroup_id_x 1
		.amdhsa_system_sgpr_workgroup_id_y 0
		.amdhsa_system_sgpr_workgroup_id_z 0
		.amdhsa_system_sgpr_workgroup_info 0
		.amdhsa_system_vgpr_workitem_id 0
		.amdhsa_next_free_vgpr 256
		.amdhsa_next_free_sgpr 40
		.amdhsa_reserve_vcc 1
		.amdhsa_reserve_flat_scratch 0
		.amdhsa_float_round_mode_32 0
		.amdhsa_float_round_mode_16_64 0
		.amdhsa_float_denorm_mode_32 3
		.amdhsa_float_denorm_mode_16_64 3
		.amdhsa_dx10_clamp 1
		.amdhsa_ieee_mode 1
		.amdhsa_fp16_overflow 0
		.amdhsa_workgroup_processor_mode 1
		.amdhsa_memory_ordered 1
		.amdhsa_forward_progress 0
		.amdhsa_shared_vgpr_count 0
		.amdhsa_exception_fp_ieee_invalid_op 0
		.amdhsa_exception_fp_denorm_src 0
		.amdhsa_exception_fp_ieee_div_zero 0
		.amdhsa_exception_fp_ieee_overflow 0
		.amdhsa_exception_fp_ieee_underflow 0
		.amdhsa_exception_fp_ieee_inexact 0
		.amdhsa_exception_int_div_zero 0
	.end_amdhsa_kernel
	.text
.Lfunc_end0:
	.size	bluestein_single_back_len1617_dim1_dp_op_CI_CI, .Lfunc_end0-bluestein_single_back_len1617_dim1_dp_op_CI_CI
                                        ; -- End function
	.section	.AMDGPU.csdata,"",@progbits
; Kernel info:
; codeLenInByte = 16560
; NumSgprs: 42
; NumVgprs: 256
; ScratchSize: 240
; MemoryBound: 0
; FloatMode: 240
; IeeeMode: 1
; LDSByteSize: 25872 bytes/workgroup (compile time only)
; SGPRBlocks: 5
; VGPRBlocks: 31
; NumSGPRsForWavesPerEU: 42
; NumVGPRsForWavesPerEU: 256
; Occupancy: 4
; WaveLimiterHint : 1
; COMPUTE_PGM_RSRC2:SCRATCH_EN: 1
; COMPUTE_PGM_RSRC2:USER_SGPR: 6
; COMPUTE_PGM_RSRC2:TRAP_HANDLER: 0
; COMPUTE_PGM_RSRC2:TGID_X_EN: 1
; COMPUTE_PGM_RSRC2:TGID_Y_EN: 0
; COMPUTE_PGM_RSRC2:TGID_Z_EN: 0
; COMPUTE_PGM_RSRC2:TIDIG_COMP_CNT: 0
	.text
	.p2alignl 6, 3214868480
	.fill 48, 4, 3214868480
	.type	__hip_cuid_3ee4e57ec102a2e4,@object ; @__hip_cuid_3ee4e57ec102a2e4
	.section	.bss,"aw",@nobits
	.globl	__hip_cuid_3ee4e57ec102a2e4
__hip_cuid_3ee4e57ec102a2e4:
	.byte	0                               ; 0x0
	.size	__hip_cuid_3ee4e57ec102a2e4, 1

	.ident	"AMD clang version 19.0.0git (https://github.com/RadeonOpenCompute/llvm-project roc-6.4.0 25133 c7fe45cf4b819c5991fe208aaa96edf142730f1d)"
	.section	".note.GNU-stack","",@progbits
	.addrsig
	.addrsig_sym __hip_cuid_3ee4e57ec102a2e4
	.amdgpu_metadata
---
amdhsa.kernels:
  - .args:
      - .actual_access:  read_only
        .address_space:  global
        .offset:         0
        .size:           8
        .value_kind:     global_buffer
      - .actual_access:  read_only
        .address_space:  global
        .offset:         8
        .size:           8
        .value_kind:     global_buffer
      - .actual_access:  read_only
        .address_space:  global
        .offset:         16
        .size:           8
        .value_kind:     global_buffer
      - .actual_access:  read_only
        .address_space:  global
        .offset:         24
        .size:           8
        .value_kind:     global_buffer
      - .actual_access:  read_only
        .address_space:  global
        .offset:         32
        .size:           8
        .value_kind:     global_buffer
      - .offset:         40
        .size:           8
        .value_kind:     by_value
      - .address_space:  global
        .offset:         48
        .size:           8
        .value_kind:     global_buffer
      - .address_space:  global
        .offset:         56
        .size:           8
        .value_kind:     global_buffer
      - .address_space:  global
        .offset:         64
        .size:           8
        .value_kind:     global_buffer
      - .address_space:  global
        .offset:         72
        .size:           8
        .value_kind:     global_buffer
      - .offset:         80
        .size:           4
        .value_kind:     by_value
      - .address_space:  global
        .offset:         88
        .size:           8
        .value_kind:     global_buffer
      - .address_space:  global
        .offset:         96
        .size:           8
        .value_kind:     global_buffer
    .group_segment_fixed_size: 25872
    .kernarg_segment_align: 8
    .kernarg_segment_size: 104
    .language:       OpenCL C
    .language_version:
      - 2
      - 0
    .max_flat_workgroup_size: 231
    .name:           bluestein_single_back_len1617_dim1_dp_op_CI_CI
    .private_segment_fixed_size: 240
    .sgpr_count:     42
    .sgpr_spill_count: 0
    .symbol:         bluestein_single_back_len1617_dim1_dp_op_CI_CI.kd
    .uniform_work_group_size: 1
    .uses_dynamic_stack: false
    .vgpr_count:     256
    .vgpr_spill_count: 59
    .wavefront_size: 32
    .workgroup_processor_mode: 1
amdhsa.target:   amdgcn-amd-amdhsa--gfx1030
amdhsa.version:
  - 1
  - 2
...

	.end_amdgpu_metadata
